;; amdgpu-corpus repo=ROCm/aiter kind=harvested arch=n/a opt=n/a

/root/src/amdgpu-assembly/repos/ROCm__aiter/hsa/gfx942/fmoe/silu/fmoe_bf16_pertokenInt8_g1u1_smf_silu_1tg_32x384.co:	file format elf64-amdgpu

Disassembly of section .text:

0000000000002e00 <_ZN5aiter47fmoe_bf16_pertokenInt8_g1u1_smf_silu_1tg_32x384E>:
	s_and_b32 s1, s1, 0xffff                                   // 000000002E00: 8601FF01 0000FFFF
	s_load_dwordx2 s[8:9], s[0:1], 0x0                         // 000000002E08: C0060200 00000000
	s_load_dwordx2 s[20:21], s[0:1], 0x10                      // 000000002E10: C0060500 00000010
	s_load_dwordx2 s[24:25], s[0:1], 0x20                      // 000000002E18: C0060600 00000020
	s_load_dwordx2 s[50:51], s[0:1], 0x30                      // 000000002E20: C0060C80 00000030
	s_load_dwordx2 s[12:13], s[0:1], 0x40                      // 000000002E28: C0060300 00000040
	s_load_dwordx2 s[28:29], s[0:1], 0x50                      // 000000002E30: C0060700 00000050
	s_load_dwordx2 s[32:33], s[0:1], 0x60                      // 000000002E38: C0060800 00000060
	s_load_dwordx2 s[16:17], s[0:1], 0x70                      // 000000002E40: C0060400 00000070
	s_load_dwordx2 s[36:37], s[0:1], 0x80                      // 000000002E48: C0060900 00000080
	s_load_dwordx2 s[44:45], s[0:1], 0x90                      // 000000002E50: C0060B00 00000090
	s_load_dwordx2 s[40:41], s[0:1], 0xa0                      // 000000002E58: C0060A00 000000A0
	s_load_dwordx2 s[46:47], s[0:1], 0xb0                      // 000000002E60: C0060B80 000000B0
	s_load_dword s64, s[0:1], 0xc0                             // 000000002E68: C0021000 000000C0
	s_load_dword s65, s[0:1], 0xd0                             // 000000002E70: C0021040 000000D0
	s_load_dword s66, s[0:1], 0xe0                             // 000000002E78: C0021080 000000E0
	s_load_dword s67, s[0:1], 0xf0                             // 000000002E80: C00210C0 000000F0
	s_load_dword s68, s[0:1], 0x100                            // 000000002E88: C0021100 00000100
	s_load_dword s69, s[0:1], 0x110                            // 000000002E90: C0021140 00000110
	s_load_dword s70, s[0:1], 0x120                            // 000000002E98: C0021180 00000120
	s_load_dword s71, s[0:1], 0x130                            // 000000002EA0: C00211C0 00000130
	s_load_dword s72, s[0:1], 0x140                            // 000000002EA8: C0021200 00000140
	s_load_dword s73, s[0:1], 0x150                            // 000000002EB0: C0021240 00000150
	s_load_dword s74, s[0:1], 0x160                            // 000000002EB8: C0021280 00000160
	s_load_dword s75, s[0:1], 0x170                            // 000000002EC0: C00212C0 00000170
	s_load_dword s76, s[0:1], 0x180                            // 000000002EC8: C0021300 00000180
	s_load_dword s63, s[0:1], 0x190                            // 000000002ED0: C0020FC0 00000190
	v_lshrrev_b32_e32 v1, 10, v0                               // 000000002ED8: 2002008A
	v_lshrrev_b32_e32 v2, 10, v1                               // 000000002EDC: 2004028A
	v_and_b32_e32 v2, 0x3ff, v2                                // 000000002EE0: 260404FF 000003FF
	v_and_b32_e32 v1, 0x3ff, v1                                // 000000002EE8: 260202FF 000003FF
	v_and_b32_e32 v0, 0x3ff, v0                                // 000000002EF0: 260000FF 000003FF
	v_lshrrev_b32_e32 v3, 6, v0                                // 000000002EF8: 20060086
	v_and_b32_e32 v0, 63, v0                                   // 000000002EFC: 260000BF
	s_mov_b32 s60, s2                                          // 000000002F00: BEBC0002
	s_mov_b32 s2, s3                                           // 000000002F04: BE820003
	s_mov_b32 s3, s60                                          // 000000002F08: BE83003C
	v_readfirstlane_b32 s5, v3                                 // 000000002F0C: 7E0A0503
	s_waitcnt lgkmcnt(0)                                       // 000000002F10: BF8CC07F
	s_and_b32 s51, s51, 0xffff                                 // 000000002F14: 8633FF33 0000FFFF
	s_load_dword s50, s[50:51], 0x0                            // 000000002F1C: C0020C99 00000000
	s_and_b32 s45, s45, 0xffff                                 // 000000002F24: 862DFF2D 0000FFFF
	s_and_b32 s47, s47, 0xffff                                 // 000000002F2C: 862FFF2F 0000FFFF
	s_and_b32 s9, s9, 0xffff                                   // 000000002F34: 8609FF09 0000FFFF
	s_mul_i32 s60, s66, s68                                    // 000000002F3C: 923C4442
	s_mov_b32 s22, s60                                         // 000000002F40: BE96003C
	s_mov_b32 s26, -16                                         // 000000002F44: BE9A00D0
	s_mov_b32 s14, -16                                         // 000000002F48: BE8E00D0
	s_mov_b32 s42, -16                                         // 000000002F4C: BEAA00D0
	s_mov_b32 s30, -16                                         // 000000002F50: BE9E00D0
	s_mov_b32 s34, 0x600                                       // 000000002F54: BEA200FF 00000600
	s_mov_b32 s38, 0x600                                       // 000000002F5C: BEA600FF 00000600
	s_mov_b32 s18, -16                                         // 000000002F64: BE9200D0
	s_mov_b32 s23, 0x20000                                     // 000000002F68: BE9700FF 00020000
	s_mov_b32 s27, 0x20000                                     // 000000002F70: BE9B00FF 00020000
	s_mov_b32 s15, 0x20000                                     // 000000002F78: BE8F00FF 00020000
	s_mov_b32 s43, 0x20000                                     // 000000002F80: BEAB00FF 00020000
	s_mov_b32 s31, 0x20000                                     // 000000002F88: BE9F00FF 00020000
	s_mov_b32 s35, 0x20000                                     // 000000002F90: BEA300FF 00020000
	s_mov_b32 s39, 0x20000                                     // 000000002F98: BEA700FF 00020000
	s_mov_b32 s19, 0x20000                                     // 000000002FA0: BE9300FF 00020000
	s_and_b32 s21, s21, 0xffff                                 // 000000002FA8: 8615FF15 0000FFFF
	s_and_b32 s25, s25, 0xffff                                 // 000000002FB0: 8619FF19 0000FFFF
	s_and_b32 s13, s13, 0xffff                                 // 000000002FB8: 860DFF0D 0000FFFF
	s_and_b32 s41, s41, 0xffff                                 // 000000002FC0: 8629FF29 0000FFFF
	s_and_b32 s29, s29, 0xffff                                 // 000000002FC8: 861DFF1D 0000FFFF
	s_and_b32 s33, s33, 0xffff                                 // 000000002FD0: 8621FF21 0000FFFF
	s_and_b32 s37, s37, 0xffff                                 // 000000002FD8: 8625FF25 0000FFFF
	s_and_b32 s17, s17, 0xffff                                 // 000000002FE0: 8611FF11 0000FFFF
	s_or_b32 s21, s21, 0x40000                                 // 000000002FE8: 8715FF15 00040000
	s_or_b32 s25, s25, 0x40000                                 // 000000002FF0: 8719FF19 00040000
	s_or_b32 s13, s13, 0x40000                                 // 000000002FF8: 870DFF0D 00040000
	s_or_b32 s41, s41, 0x40000                                 // 000000003000: 8729FF29 00040000
	s_or_b32 s29, s29, 0x40000                                 // 000000003008: 871DFF1D 00040000
	s_or_b32 s33, s33, 0x40000                                 // 000000003010: 8721FF21 00040000
	s_or_b32 s37, s37, 0x40000                                 // 000000003018: 8725FF25 00040000
	s_or_b32 s17, s17, 0x40000                                 // 000000003020: 8711FF11 00040000
	v_accvgpr_write_b32 a191, 0                                // 000000003028: D3D940BF 18000080
	v_mov_b32_e32 v239, 0                                      // 000000003030: 7FDE0280
	s_waitcnt lgkmcnt(0)                                       // 000000003034: BF8CC07F
	s_mul_i32 s60, s3, 32                                      // 000000003038: 923CA003
	s_cmp_lt_i32 s60, s50                                      // 00000000303C: BF04323C
	s_cbranch_scc0 label_2DF2                                  // 000000003040: BF842D61
	s_mov_b32 s80, 0                                           // 000000003044: BED00080
	s_mov_b32 s81, s64                                         // 000000003048: BED10040
	s_mul_i32 s60, s3, 4                                       // 00000000304C: 923C8403
	s_add_u32 s46, s60, s46                                    // 000000003050: 802E2E3C
	s_addc_u32 s47, 0, s47                                     // 000000003054: 822F2F80
	s_load_dword s77, s[46:47], 0x0                            // 000000003058: C0021357 00000000
	s_mul_i32 s60, s3, 32                                      // 000000003060: 923CA003
	s_add_u32 s60, s5, s60                                     // 000000003064: 803C3C05
	s_mul_i32 s60, 4, s60                                      // 000000003068: 923C3C84
	s_add_u32 s44, s60, s44                                    // 00000000306C: 802C2C3C
	s_addc_u32 s45, 0, s45                                     // 000000003070: 822D2D80
	s_load_dword s82, s[44:45], 0x0                            // 000000003074: C0021496 00000000
	s_load_dword s83, s[44:45], 0x10                           // 00000000307C: C00214D6 00000010
	s_load_dword s84, s[44:45], 0x20                           // 000000003084: C0021516 00000020
	s_load_dword s85, s[44:45], 0x30                           // 00000000308C: C0021556 00000030
	s_load_dword s86, s[44:45], 0x40                           // 000000003094: C0021596 00000040
	s_load_dword s87, s[44:45], 0x50                           // 00000000309C: C00215D6 00000050
	s_load_dword s88, s[44:45], 0x60                           // 0000000030A4: C0021616 00000060
	s_load_dword s89, s[44:45], 0x70                           // 0000000030AC: C0021656 00000070
	s_waitcnt lgkmcnt(0)                                       // 0000000030B4: BF8CC07F
	v_lshlrev_b32_e32 v42, 2, v0                               // 0000000030B8: 24540082
	s_and_b32 s82, s82, 0xffffff                               // 0000000030BC: 8652FF52 00FFFFFF
	s_mul_i32 s60, s82, s68                                    // 0000000030C4: 923C4452
	v_add_u32_e64 v28, v42, s60                                // 0000000030C8: D134001C 0000792A
	s_and_b32 s83, s83, 0xffffff                               // 0000000030D0: 8653FF53 00FFFFFF
	s_mul_i32 s60, s83, s68                                    // 0000000030D8: 923C4453
	v_add_u32_e64 v29, v42, s60                                // 0000000030DC: D134001D 0000792A
	s_and_b32 s84, s84, 0xffffff                               // 0000000030E4: 8654FF54 00FFFFFF
	s_mul_i32 s60, s84, s68                                    // 0000000030EC: 923C4454
	v_add_u32_e64 v30, v42, s60                                // 0000000030F0: D134001E 0000792A
	s_and_b32 s85, s85, 0xffffff                               // 0000000030F8: 8655FF55 00FFFFFF
	s_mul_i32 s60, s85, s68                                    // 000000003100: 923C4455
	v_add_u32_e64 v31, v42, s60                                // 000000003104: D134001F 0000792A
	s_and_b32 s86, s86, 0xffffff                               // 00000000310C: 8656FF56 00FFFFFF
	s_mul_i32 s60, s86, s68                                    // 000000003114: 923C4456
	v_add_u32_e64 v32, v42, s60                                // 000000003118: D1340020 0000792A
	s_and_b32 s87, s87, 0xffffff                               // 000000003120: 8657FF57 00FFFFFF
	s_mul_i32 s60, s87, s68                                    // 000000003128: 923C4457
	v_add_u32_e64 v33, v42, s60                                // 00000000312C: D1340021 0000792A
	s_and_b32 s88, s88, 0xffffff                               // 000000003134: 8658FF58 00FFFFFF
	s_mul_i32 s60, s88, s68                                    // 00000000313C: 923C4458
	v_add_u32_e64 v34, v42, s60                                // 000000003140: D1340022 0000792A
	s_and_b32 s89, s89, 0xffffff                               // 000000003148: 8659FF59 00FFFFFF
	s_mul_i32 s60, s89, s68                                    // 000000003150: 923C4459
	v_add_u32_e64 v35, v42, s60                                // 000000003154: D1340023 0000792A
	v_lshlrev_b32_e32 v42, 2, v0                               // 00000000315C: 24540082
	s_mul_i32 s60, s82, s71                                    // 000000003160: 923C4752
	v_add_u32_e64 v80, v42, s60                                // 000000003164: D1340050 0000792A
	v_mov_b32_e32 v81, 0                                       // 00000000316C: 7EA20280
	s_mul_i32 s60, s83, s71                                    // 000000003170: 923C4753
	v_add_u32_e64 v82, v42, s60                                // 000000003174: D1340052 0000792A
	v_mov_b32_e32 v83, 0                                       // 00000000317C: 7EA60280
	s_mul_i32 s60, s84, s71                                    // 000000003180: 923C4754
	v_add_u32_e64 v84, v42, s60                                // 000000003184: D1340054 0000792A
	v_mov_b32_e32 v85, 0                                       // 00000000318C: 7EAA0280
	s_mul_i32 s60, s85, s71                                    // 000000003190: 923C4755
	v_add_u32_e64 v86, v42, s60                                // 000000003194: D1340056 0000792A
	v_mov_b32_e32 v87, 0                                       // 00000000319C: 7EAE0280
	s_mul_i32 s60, s86, s71                                    // 0000000031A0: 923C4756
	v_add_u32_e64 v88, v42, s60                                // 0000000031A4: D1340058 0000792A
	v_mov_b32_e32 v89, 0                                       // 0000000031AC: 7EB20280
	s_mul_i32 s60, s87, s71                                    // 0000000031B0: 923C4757
	v_add_u32_e64 v90, v42, s60                                // 0000000031B4: D134005A 0000792A
	v_mov_b32_e32 v91, 0                                       // 0000000031BC: 7EB60280
	s_mul_i32 s60, s88, s71                                    // 0000000031C0: 923C4758
	v_add_u32_e64 v92, v42, s60                                // 0000000031C4: D134005C 0000792A
	v_mov_b32_e32 v93, 0                                       // 0000000031CC: 7EBA0280
	s_mul_i32 s60, s89, s71                                    // 0000000031D0: 923C4759
	v_add_u32_e64 v94, v42, s60                                // 0000000031D4: D134005E 0000792A
	v_mov_b32_e32 v95, 0                                       // 0000000031DC: 7EBE0280
	s_mul_i32 s60, s5, 0x208                                   // 0000000031E0: 923CFF05 00000208
	s_add_u32 s50, 0x800, s60                                  // 0000000031E8: 80323CFF 00000800
	s_add_u32 s51, 0x4100, s50                                 // 0000000031F0: 803332FF 00004100
	v_lshrrev_b32_e32 v42, 4, v0                               // 0000000031F8: 20540084
	v_lshlrev_b32_e32 v43, 1, v42                              // 0000000031FC: 24565481
	v_and_b32_e32 v42, 15, v0                                  // 000000003200: 2654008F
	v_mul_i32_i24_e32 v42, 0x82, v42                           // 000000003204: 0C5454FF 00000082
	v_add_u32_e32 v43, v42, v43                                // 00000000320C: 6856572A
	v_lshlrev_b32_e32 v2, 2, v43                               // 000000003210: 24045682
	s_mul_i32 s60, s5, 32                                      // 000000003214: 923CA005
	v_add_u32_e32 v2, s60, v2                                  // 000000003218: 6804043C
	v_lshlrev_b32_e32 v42, 3, v0                               // 00000000321C: 24540083
	s_mul_i32 s60, 0x200, s5                                   // 000000003220: 923C05FF 00000200
	v_add_u32_e32 v3, s60, v42                                 // 000000003228: 6806543C
	v_and_b32_e32 v42, 15, v0                                  // 00000000322C: 2654008F
	v_lshlrev_b32_e32 v4, 3, v42                               // 000000003230: 24085483
	v_lshrrev_b32_e32 v42, 5, v0                               // 000000003234: 20540085
	v_lshlrev_b32_e32 v43, 5, v42                              // 000000003238: 24565485
	v_and_b32_e32 v42, 31, v0                                  // 00000000323C: 2654009F
	v_lshrrev_b32_e32 v44, 4, v42                              // 000000003240: 20585484
	v_add_u32_e32 v43, v44, v43                                // 000000003244: 6856572C
	v_and_b32_e32 v42, 15, v0                                  // 000000003248: 2654008F
	v_lshlrev_b32_e32 v42, 1, v42                              // 00000000324C: 24545481
	v_add_u32_e32 v43, v42, v43                                // 000000003250: 6856572A
	v_lshlrev_b32_e32 v42, 2, v43                              // 000000003254: 24545682
	s_mul_i32 s60, 0x100, s5                                   // 000000003258: 923C05FF 00000100
	v_add_u32_e64 v12, v42, s60                                // 000000003260: D134000C 0000792A
	v_lshrrev_b32_e32 v42, 4, v0                               // 000000003268: 20540084
	v_lshlrev_b32_e32 v43, 6, v42                              // 00000000326C: 24565486
	v_and_b32_e32 v42, 15, v0                                  // 000000003270: 2654008F
	v_lshlrev_b32_e32 v42, 1, v42                              // 000000003274: 24545481
	v_add_u32_e32 v43, v42, v43                                // 000000003278: 6856572A
	v_lshlrev_b32_e32 v13, 2, v43                              // 00000000327C: 241A5682
	s_mul_i32 s60, s2, 0x180                                   // 000000003280: 923CFF02 00000180
	s_mul_i32 s60, s60, s69                                    // 000000003288: 923C453C
	s_mul_i32 s61, s77, s72                                    // 00000000328C: 923D484D
	s_add_u32 s60, s61, s60                                    // 000000003290: 803C3C3D
	s_add_u32 s24, s60, s24                                    // 000000003294: 8018183C
	s_addc_u32 s25, 0, s25                                     // 000000003298: 82191980
	s_mul_i32 s60, s5, 16                                      // 00000000329C: 923C9005
	s_mul_i32 s60, s60, s69                                    // 0000000032A0: 923C453C
	v_lshlrev_b32_e32 v36, 4, v0                               // 0000000032A4: 24480084
	v_add_u32_e32 v36, s60, v36                                // 0000000032A8: 6848483C
	s_mul_i32 s60, 64, s69                                     // 0000000032AC: 923C45C0
	v_add_u32_e32 v37, s60, v36                                // 0000000032B0: 684A483C
	v_add_u32_e32 v38, s60, v37                                // 0000000032B4: 684C4A3C
	v_add_u32_e32 v39, s60, v38                                // 0000000032B8: 684E4C3C
	v_add_u32_e32 v40, s60, v39                                // 0000000032BC: 68504E3C
	v_add_u32_e32 v41, s60, v40                                // 0000000032C0: 6852503C
	s_mov_b32 s92, s24                                         // 0000000032C4: BEDC0018
	s_mov_b32 s93, s25                                         // 0000000032C8: BEDD0019
	s_mov_b32 s94, s26                                         // 0000000032CC: BEDE001A
	s_mov_b32 s95, s27                                         // 0000000032D0: BEDF001B
	s_mul_i32 s60, s69, s65                                    // 0000000032D4: 923C4145
	s_add_u32 s92, s60, s92                                    // 0000000032D8: 805C5C3C
	s_addc_u32 s93, 0, s93                                     // 0000000032DC: 825D5D80
	s_mul_i32 s60, s2, 0x1800                                  // 0000000032E0: 923CFF02 00001800
	s_mul_i32 s61, s77, s73                                    // 0000000032E8: 923D494D
	s_add_u32 s60, s61, s60                                    // 0000000032EC: 803C3C3D
	s_add_u32 s12, s60, s12                                    // 0000000032F0: 800C0C3C
	s_addc_u32 s13, 0, s13                                     // 0000000032F4: 820D0D80
	s_mul_i32 s60, s70, 0x100                                  // 0000000032F8: 923CFF46 00000100
	s_mov_b32 s78, 0x400                                       // 000000003300: BECE00FF 00000400
	s_mul_i32 s61, s78, 5                                      // 000000003308: 923D854E
	s_sub_u32 s56, s60, s61                                    // 00000000330C: 80B83D3C
	s_mul_i32 s60, s3, 32                                      // 000000003310: 923CA003
	s_mul_i32 s60, 4, s60                                      // 000000003314: 923C3C84
	s_add_u32 s40, s60, s40                                    // 000000003318: 8028283C
	s_addc_u32 s41, 0, s41                                     // 00000000331C: 82292980
	v_and_b32_e32 v42, 15, v0                                  // 000000003320: 2654008F
	v_lshlrev_b32_e32 v8, 2, v42                               // 000000003324: 24105482
	v_add_u32_e32 v9, 64, v8                                   // 000000003328: 681210C0
	v_lshrrev_b32_e32 v42, 4, v0                               // 00000000332C: 20540084
	v_lshlrev_b32_e32 v43, 2, v42                              // 000000003330: 24565482
	v_and_b32_e32 v42, 15, v0                                  // 000000003334: 2654008F
	v_lshrrev_b32_e32 v44, 2, v42                              // 000000003338: 20585482
	v_lshlrev_b32_e32 v44, 6, v44                              // 00000000333C: 24585886
	v_add_u32_e32 v43, v44, v43                                // 000000003340: 6856572C
	v_and_b32_e32 v42, 3, v0                                   // 000000003344: 26540083
	v_add_u32_e32 v43, v42, v43                                // 000000003348: 6856572A
	v_lshlrev_b32_e32 v10, 2, v43                              // 00000000334C: 24145682
	v_add_u32_e32 v11, 0x400, v10                              // 000000003350: 681614FF 00000400
	s_mul_i32 s60, s5, 16                                      // 000000003358: 923C9005
	s_mul_i32 s60, s60, 4                                      // 00000000335C: 923C843C
	v_add_u32_e32 v10, s60, v10                                // 000000003360: 6814143C
	v_add_u32_e32 v11, s60, v11                                // 000000003364: 6816163C
	v_mov_b32_e32 v5, v10                                      // 000000003368: 7E0A030A
	v_mov_b32_e32 v6, v10                                      // 00000000336C: 7E0C030A
	s_mul_i32 s60, s2, 0x180                                   // 000000003370: 923CFF02 00000180
	s_mul_i32 s60, s60, 4                                      // 000000003378: 923C843C
	s_mul_i32 s61, s77, s74                                    // 00000000337C: 923D4A4D
	s_add_u32 s61, s61, s60                                    // 000000003380: 803D3C3D
	s_mul_i32 s62, s77, s76                                    // 000000003384: 923E4C4D
	s_add_u32 s62, s62, s60                                    // 000000003388: 803E3C3E
	s_add_u32 s32, s61, s32                                    // 00000000338C: 8020203D
	s_addc_u32 s33, 0, s33                                     // 000000003390: 82212180
	s_add_u32 s36, s62, s36                                    // 000000003394: 8024243E
	s_addc_u32 s37, 0, s37                                     // 000000003398: 82252580
	s_mul_i32 s60, s77, s75                                    // 00000000339C: 923C4B4D
	s_add_u32 s16, s60, s16                                    // 0000000033A0: 8010103C
	s_addc_u32 s17, 0, s17                                     // 0000000033A4: 82111180
	s_add_u32 s28, s60, s28                                    // 0000000033A8: 801C1C3C
	s_addc_u32 s29, 0, s29                                     // 0000000033AC: 821D1D80
	s_mov_b32 s57, 0x200                                       // 0000000033B0: BEB900FF 00000200
	s_mov_b32 s58, 0x1000                                      // 0000000033B8: BEBA00FF 00001000
	s_mov_b32 s79, 0x400                                       // 0000000033C0: BECF00FF 00000400
	s_mov_b32 s91, 0x400                                       // 0000000033C8: BEDB00FF 00000400
	s_mov_b32 s59, 0                                           // 0000000033D0: BEBB0080
	s_mov_b32 s90, s58                                         // 0000000033D4: BEDA003A
	s_mov_b32 s52, 0x7060302                                   // 0000000033D8: BEB400FF 07060302
	s_mov_b32 s53, 0x400                                       // 0000000033E0: BEB500FF 00000400
	s_mov_b32 s54, 0x40100                                     // 0000000033E8: BEB600FF 00040100
	s_mov_b32 s55, 0x4020100                                   // 0000000033F0: BEB700FF 04020100
	s_mov_b32 s6, 0x3fb8aa3b                                   // 0000000033F8: BE8600FF 3FB8AA3B
	s_mov_b32 s7, 0x3fb8aa3b                                   // 000000003400: BE8700FF 3FB8AA3B
	s_mov_b32 s3, 0xbd92220c                                   // 000000003408: BE8300FF BD92220C
	s_mov_b32 s4, 0xbd92220c                                   // 000000003410: BE8400FF BD92220C
	s_mov_b32 m0, s50                                          // 000000003418: BEFC0032
	v_mov_b32_e32 v54, 0xbfcc4231                              // 00000000341C: 7E6C02FF BFCC4231
	v_mov_b32_e32 v55, 0xbfcc4231                              // 000000003424: 7E6E02FF BFCC4231
	v_mov_b32_e32 v51, 0xffff0000                              // 00000000342C: 7E6602FF FFFF0000
	v_mov_b32_e32 v52, 0x7fff0000                              // 000000003434: 7E6802FF 7FFF0000
	v_mov_b32_e32 v53, 0x7fff                                  // 00000000343C: 7E6A02FF 00007FFF
	buffer_load_dword v20, v8, s[40:43], 0 offen               // 000000003444: E0501000 800A1408
	buffer_load_dword v21, v9, s[40:43], 0 offen               // 00000000344C: E0501000 800A1509
	buffer_load_dword v16, v10, s[32:35], 0 offen              // 000000003454: E0501000 8008100A
	buffer_load_dword v17, v11, s[32:35], 0 offen              // 00000000345C: E0501000 8008110B
	s_mul_i32 s60, 4, s65                                      // 000000003464: 923C4184
	s_add_u32 s32, s60, s32                                    // 000000003468: 8020203C
	s_addc_u32 s33, 0, s33                                     // 00000000346C: 82212180
	buffer_load_dword v8, v10, s[32:35], 0 offen               // 000000003470: E0501000 8008080A
	buffer_load_dword v9, v11, s[32:35], 0 offen               // 000000003478: E0501000 8008090B
	buffer_load_dword v18, v10, s[36:39], 0 offen              // 000000003480: E0501000 8009120A
	buffer_load_dword v19, v11, s[36:39], 0 offen              // 000000003488: E0501000 8009130B
	buffer_load_dword v14, v6, s[28:31], 0 offen               // 000000003490: E0501000 80070E06
	s_add_u32 s28, s91, s28                                    // 000000003498: 801C1C5B
	s_addc_u32 s29, 0, s29                                     // 00000000349C: 821D1D80
	buffer_load_dword v28, s[20:23], 0 offen lds               // 0000000034A0: E0511000 8005001C
	buffer_load_dword v28, s[20:23], 0 offen offset:256 lds    // 0000000034A8: E0511100 8005001C
	s_add_u32 m0, 0x820, s50                                   // 0000000034B0: 807C32FF 00000820
	buffer_load_dword v29, s[20:23], 0 offen lds               // 0000000034B8: E0511000 8005001D
	buffer_load_dword v29, s[20:23], 0 offen offset:256 lds    // 0000000034C0: E0511100 8005001D
	s_add_u32 m0, 0x1040, s50                                  // 0000000034C8: 807C32FF 00001040
	buffer_load_dword v30, s[20:23], 0 offen lds               // 0000000034D0: E0511000 8005001E
	buffer_load_dword v30, s[20:23], 0 offen offset:256 lds    // 0000000034D8: E0511100 8005001E
	s_add_u32 m0, 0x1860, s50                                  // 0000000034E0: 807C32FF 00001860
	buffer_load_dword v31, s[20:23], 0 offen lds               // 0000000034E8: E0511000 8005001F
	buffer_load_dword v31, s[20:23], 0 offen offset:256 lds    // 0000000034F0: E0511100 8005001F
	s_add_u32 m0, 0x2080, s50                                  // 0000000034F8: 807C32FF 00002080
	buffer_load_dword v32, s[20:23], 0 offen lds               // 000000003500: E0511000 80050020
	buffer_load_dword v32, s[20:23], 0 offen offset:256 lds    // 000000003508: E0511100 80050020
	s_add_u32 m0, 0x28a0, s50                                  // 000000003510: 807C32FF 000028A0
	buffer_load_dword v33, s[20:23], 0 offen lds               // 000000003518: E0511000 80050021
	buffer_load_dword v33, s[20:23], 0 offen offset:256 lds    // 000000003520: E0511100 80050021
	s_add_u32 m0, 0x30c0, s50                                  // 000000003528: 807C32FF 000030C0
	buffer_load_dword v34, s[20:23], 0 offen lds               // 000000003530: E0511000 80050022
	buffer_load_dword v34, s[20:23], 0 offen offset:256 lds    // 000000003538: E0511100 80050022
	s_add_u32 m0, 0x38e0, s50                                  // 000000003540: 807C32FF 000038E0
	buffer_load_dword v35, s[20:23], 0 offen lds               // 000000003548: E0511000 80050023
	buffer_load_dword v35, s[20:23], 0 offen offset:256 lds    // 000000003550: E0511100 80050023
	s_add_u32 m0, 0, s51                                       // 000000003558: 807C3380
	s_add_u32 s20, s57, s20                                    // 00000000355C: 80141439
	s_addc_u32 s21, 0, s21                                     // 000000003560: 82151580
	buffer_load_dwordx4 a[0:3], v36, s[24:27], 0 offen         // 000000003564: E05C1000 80860024
	buffer_load_dwordx4 a[4:7], v36, s[24:27], 0 offen offset:1024// 00000000356C: E05C1400 80860424
	buffer_load_dwordx4 a[8:11], v36, s[24:27], 0 offen offset:2048// 000000003574: E05C1800 80860824
	buffer_load_dwordx4 a[12:15], v36, s[24:27], 0 offen offset:3072// 00000000357C: E05C1C00 80860C24
	buffer_load_dwordx4 a[16:19], v37, s[24:27], 0 offen       // 000000003584: E05C1000 80861025
	buffer_load_dwordx4 a[20:23], v37, s[24:27], 0 offen offset:1024// 00000000358C: E05C1400 80861425
	buffer_load_dwordx4 a[24:27], v37, s[24:27], 0 offen offset:2048// 000000003594: E05C1800 80861825
	buffer_load_dwordx4 a[28:31], v37, s[24:27], 0 offen offset:3072// 00000000359C: E05C1C00 80861C25
	buffer_load_dwordx4 a[32:35], v38, s[24:27], 0 offen       // 0000000035A4: E05C1000 80862026
	buffer_load_dwordx4 a[36:39], v38, s[24:27], 0 offen offset:1024// 0000000035AC: E05C1400 80862426
	buffer_load_dwordx4 a[40:43], v38, s[24:27], 0 offen offset:2048// 0000000035B4: E05C1800 80862826
	buffer_load_dwordx4 a[44:47], v38, s[24:27], 0 offen offset:3072// 0000000035BC: E05C1C00 80862C26
	buffer_load_dwordx4 a[48:51], v39, s[24:27], 0 offen       // 0000000035C4: E05C1000 80863027
	buffer_load_dwordx4 a[52:55], v39, s[24:27], 0 offen offset:1024// 0000000035CC: E05C1400 80863427
	buffer_load_dwordx4 a[56:59], v39, s[24:27], 0 offen offset:2048// 0000000035D4: E05C1800 80863827
	buffer_load_dwordx4 a[60:63], v39, s[24:27], 0 offen offset:3072// 0000000035DC: E05C1C00 80863C27
	buffer_load_dwordx4 a[64:67], v40, s[24:27], 0 offen       // 0000000035E4: E05C1000 80864028
	buffer_load_dwordx4 a[68:71], v40, s[24:27], 0 offen offset:1024// 0000000035EC: E05C1400 80864428
	buffer_load_dwordx4 a[72:75], v40, s[24:27], 0 offen offset:2048// 0000000035F4: E05C1800 80864828
	buffer_load_dwordx4 a[76:79], v40, s[24:27], 0 offen offset:3072// 0000000035FC: E05C1C00 80864C28
	buffer_load_dwordx4 a[80:83], v41, s[24:27], 0 offen       // 000000003604: E05C1000 80865029
	buffer_load_dwordx4 a[84:87], v41, s[24:27], 0 offen offset:1024// 00000000360C: E05C1400 80865429
	buffer_load_dwordx4 a[88:91], v41, s[24:27], 0 offen offset:2048// 000000003614: E05C1800 80865829
	buffer_load_dwordx4 a[92:95], v41, s[24:27], 0 offen offset:3072// 00000000361C: E05C1C00 80865C29
	s_add_u32 s24, s58, s24                                    // 000000003624: 8018183A
	s_addc_u32 s25, 0, s25                                     // 000000003628: 82191980
	v_mov_b32_e32 v128, 0                                      // 00000000362C: 7F000280
	v_mov_b32_e32 v64, 0                                       // 000000003630: 7E800280
	v_mov_b32_e32 v129, 0                                      // 000000003634: 7F020280
	v_mov_b32_e32 v65, 0                                       // 000000003638: 7E820280
	v_mov_b32_e32 v130, 0                                      // 00000000363C: 7F040280
	v_mov_b32_e32 v66, 0                                       // 000000003640: 7E840280
	v_mov_b32_e32 v131, 0                                      // 000000003644: 7F060280
	v_mov_b32_e32 v67, 0                                       // 000000003648: 7E860280
	v_mov_b32_e32 v132, 0                                      // 00000000364C: 7F080280
	v_mov_b32_e32 v68, 0                                       // 000000003650: 7E880280
	v_mov_b32_e32 v133, 0                                      // 000000003654: 7F0A0280
	v_mov_b32_e32 v69, 0                                       // 000000003658: 7E8A0280
	v_mov_b32_e32 v134, 0                                      // 00000000365C: 7F0C0280
	v_mov_b32_e32 v70, 0                                       // 000000003660: 7E8C0280
	v_mov_b32_e32 v135, 0                                      // 000000003664: 7F0E0280
	v_mov_b32_e32 v71, 0                                       // 000000003668: 7E8E0280
	v_mov_b32_e32 v136, 0                                      // 00000000366C: 7F100280
	v_mov_b32_e32 v72, 0                                       // 000000003670: 7E900280
	v_mov_b32_e32 v137, 0                                      // 000000003674: 7F120280
	v_mov_b32_e32 v73, 0                                       // 000000003678: 7E920280
	v_mov_b32_e32 v138, 0                                      // 00000000367C: 7F140280
	v_mov_b32_e32 v74, 0                                       // 000000003680: 7E940280
	v_mov_b32_e32 v139, 0                                      // 000000003684: 7F160280
	v_mov_b32_e32 v75, 0                                       // 000000003688: 7E960280
	v_mov_b32_e32 v140, 0                                      // 00000000368C: 7F180280
	v_mov_b32_e32 v76, 0                                       // 000000003690: 7E980280
	v_mov_b32_e32 v141, 0                                      // 000000003694: 7F1A0280
	v_mov_b32_e32 v77, 0                                       // 000000003698: 7E9A0280
	v_mov_b32_e32 v142, 0                                      // 00000000369C: 7F1C0280
	v_mov_b32_e32 v78, 0                                       // 0000000036A0: 7E9C0280
	v_mov_b32_e32 v143, 0                                      // 0000000036A4: 7F1E0280
	v_mov_b32_e32 v79, 0                                       // 0000000036A8: 7E9E0280
	v_mov_b32_e32 v144, 0                                      // 0000000036AC: 7F200280
	v_mov_b32_e32 v80, 0                                       // 0000000036B0: 7EA00280
	v_mov_b32_e32 v145, 0                                      // 0000000036B4: 7F220280
	v_mov_b32_e32 v81, 0                                       // 0000000036B8: 7EA20280
	v_mov_b32_e32 v146, 0                                      // 0000000036BC: 7F240280
	v_mov_b32_e32 v82, 0                                       // 0000000036C0: 7EA40280
	v_mov_b32_e32 v147, 0                                      // 0000000036C4: 7F260280
	v_mov_b32_e32 v83, 0                                       // 0000000036C8: 7EA60280
	v_mov_b32_e32 v148, 0                                      // 0000000036CC: 7F280280
	v_mov_b32_e32 v84, 0                                       // 0000000036D0: 7EA80280
	v_mov_b32_e32 v149, 0                                      // 0000000036D4: 7F2A0280
	v_mov_b32_e32 v85, 0                                       // 0000000036D8: 7EAA0280
	v_mov_b32_e32 v150, 0                                      // 0000000036DC: 7F2C0280
	v_mov_b32_e32 v86, 0                                       // 0000000036E0: 7EAC0280
	v_mov_b32_e32 v151, 0                                      // 0000000036E4: 7F2E0280
	v_mov_b32_e32 v87, 0                                       // 0000000036E8: 7EAE0280
	v_mov_b32_e32 v152, 0                                      // 0000000036EC: 7F300280
	v_mov_b32_e32 v88, 0                                       // 0000000036F0: 7EB00280
	v_mov_b32_e32 v153, 0                                      // 0000000036F4: 7F320280
	v_mov_b32_e32 v89, 0                                       // 0000000036F8: 7EB20280
	v_mov_b32_e32 v154, 0                                      // 0000000036FC: 7F340280
	v_mov_b32_e32 v90, 0                                       // 000000003700: 7EB40280
	v_mov_b32_e32 v155, 0                                      // 000000003704: 7F360280
	v_mov_b32_e32 v91, 0                                       // 000000003708: 7EB60280
	v_mov_b32_e32 v156, 0                                      // 00000000370C: 7F380280
	v_mov_b32_e32 v92, 0                                       // 000000003710: 7EB80280
	v_mov_b32_e32 v157, 0                                      // 000000003714: 7F3A0280
	v_mov_b32_e32 v93, 0                                       // 000000003718: 7EBA0280
	v_mov_b32_e32 v158, 0                                      // 00000000371C: 7F3C0280
	v_mov_b32_e32 v94, 0                                       // 000000003720: 7EBC0280
	v_mov_b32_e32 v159, 0                                      // 000000003724: 7F3E0280
	v_mov_b32_e32 v95, 0                                       // 000000003728: 7EBE0280
	v_mov_b32_e32 v160, 0                                      // 00000000372C: 7F400280
	v_mov_b32_e32 v96, 0                                       // 000000003730: 7EC00280
	v_mov_b32_e32 v161, 0                                      // 000000003734: 7F420280
	v_mov_b32_e32 v97, 0                                       // 000000003738: 7EC20280
	v_mov_b32_e32 v162, 0                                      // 00000000373C: 7F440280
	v_mov_b32_e32 v98, 0                                       // 000000003740: 7EC40280
	v_mov_b32_e32 v163, 0                                      // 000000003744: 7F460280
	v_mov_b32_e32 v99, 0                                       // 000000003748: 7EC60280
	v_mov_b32_e32 v164, 0                                      // 00000000374C: 7F480280
	v_mov_b32_e32 v100, 0                                      // 000000003750: 7EC80280
	v_mov_b32_e32 v165, 0                                      // 000000003754: 7F4A0280
	v_mov_b32_e32 v101, 0                                      // 000000003758: 7ECA0280
	v_mov_b32_e32 v166, 0                                      // 00000000375C: 7F4C0280
	v_mov_b32_e32 v102, 0                                      // 000000003760: 7ECC0280
	v_mov_b32_e32 v167, 0                                      // 000000003764: 7F4E0280
	v_mov_b32_e32 v103, 0                                      // 000000003768: 7ECE0280
	v_mov_b32_e32 v168, 0                                      // 00000000376C: 7F500280
	v_mov_b32_e32 v104, 0                                      // 000000003770: 7ED00280
	v_mov_b32_e32 v169, 0                                      // 000000003774: 7F520280
	v_mov_b32_e32 v105, 0                                      // 000000003778: 7ED20280
	v_mov_b32_e32 v170, 0                                      // 00000000377C: 7F540280
	v_mov_b32_e32 v106, 0                                      // 000000003780: 7ED40280
	v_mov_b32_e32 v171, 0                                      // 000000003784: 7F560280
	v_mov_b32_e32 v107, 0                                      // 000000003788: 7ED60280
	v_mov_b32_e32 v172, 0                                      // 00000000378C: 7F580280
	v_mov_b32_e32 v108, 0                                      // 000000003790: 7ED80280
	v_mov_b32_e32 v173, 0                                      // 000000003794: 7F5A0280
	v_mov_b32_e32 v109, 0                                      // 000000003798: 7EDA0280
	v_mov_b32_e32 v174, 0                                      // 00000000379C: 7F5C0280
	v_mov_b32_e32 v110, 0                                      // 0000000037A0: 7EDC0280
	v_mov_b32_e32 v175, 0                                      // 0000000037A4: 7F5E0280
	v_mov_b32_e32 v111, 0                                      // 0000000037A8: 7EDE0280
	s_waitcnt vmcnt(24)                                        // 0000000037AC: BF8C4F78
	s_barrier                                                  // 0000000037B0: BF8A0000
	ds_read_b64 v[176:177], v2 offset:2048                     // 0000000037B4: D8EC0800 B0000002
	ds_read_b64 v[180:181], v2 offset:10368                    // 0000000037BC: D8EC2880 B4000002
	ds_read_b64 v[184:185], v2 offset:2176                     // 0000000037C4: D8EC0880 B8000002
	ds_read_b64 v[188:189], v2 offset:10496                    // 0000000037CC: D8EC2900 BC000002
	ds_read_b64 v[192:193], v2 offset:2304                     // 0000000037D4: D8EC0900 C0000002
	ds_read_b64 v[196:197], v2 offset:10624                    // 0000000037DC: D8EC2980 C4000002
	ds_read_b64 v[200:201], v2 offset:2432                     // 0000000037E4: D8EC0980 C8000002
	ds_read_b64 v[204:205], v2 offset:10752                    // 0000000037EC: D8EC2A00 CC000002
	s_waitcnt lgkmcnt(0)                                       // 0000000037F4: BF8CC07F
	v_and_b32_e32 v179, 0xffff0000, v177                       // 0000000037F8: 276762FF FFFF0000
	v_lshlrev_b32_e32 v178, 16, v177                           // 000000003800: 25656290
	v_and_b32_e32 v177, 0xffff0000, v176                       // 000000003804: 276360FF FFFF0000
	v_lshlrev_b32_e32 v176, 16, v176                           // 00000000380C: 25616090
	v_and_b32_e32 v183, 0xffff0000, v181                       // 000000003810: 276F6AFF FFFF0000
	v_lshlrev_b32_e32 v182, 16, v181                           // 000000003818: 256D6A90
	v_and_b32_e32 v181, 0xffff0000, v180                       // 00000000381C: 276B68FF FFFF0000
	v_lshlrev_b32_e32 v180, 16, v180                           // 000000003824: 25696890
	v_and_b32_e32 v187, 0xffff0000, v185                       // 000000003828: 277772FF FFFF0000
	v_lshlrev_b32_e32 v186, 16, v185                           // 000000003830: 25757290
	v_and_b32_e32 v185, 0xffff0000, v184                       // 000000003834: 277370FF FFFF0000
	v_lshlrev_b32_e32 v184, 16, v184                           // 00000000383C: 25717090
	v_and_b32_e32 v191, 0xffff0000, v189                       // 000000003840: 277F7AFF FFFF0000
	v_lshlrev_b32_e32 v190, 16, v189                           // 000000003848: 257D7A90
	v_and_b32_e32 v189, 0xffff0000, v188                       // 00000000384C: 277B78FF FFFF0000
	v_lshlrev_b32_e32 v188, 16, v188                           // 000000003854: 25797890
	v_and_b32_e32 v195, 0xffff0000, v193                       // 000000003858: 278782FF FFFF0000
	v_lshlrev_b32_e32 v194, 16, v193                           // 000000003860: 25858290
	v_and_b32_e32 v193, 0xffff0000, v192                       // 000000003864: 278380FF FFFF0000
	v_lshlrev_b32_e32 v192, 16, v192                           // 00000000386C: 25818090
	v_and_b32_e32 v199, 0xffff0000, v197                       // 000000003870: 278F8AFF FFFF0000
	v_lshlrev_b32_e32 v198, 16, v197                           // 000000003878: 258D8A90
	v_and_b32_e32 v197, 0xffff0000, v196                       // 00000000387C: 278B88FF FFFF0000
	v_lshlrev_b32_e32 v196, 16, v196                           // 000000003884: 25898890
	v_and_b32_e32 v203, 0xffff0000, v201                       // 000000003888: 279792FF FFFF0000
	v_lshlrev_b32_e32 v202, 16, v201                           // 000000003890: 25959290
	v_and_b32_e32 v201, 0xffff0000, v200                       // 000000003894: 279390FF FFFF0000
	v_lshlrev_b32_e32 v200, 16, v200                           // 00000000389C: 25919090
	v_and_b32_e32 v207, 0xffff0000, v205                       // 0000000038A0: 279F9AFF FFFF0000
	v_lshlrev_b32_e32 v206, 16, v205                           // 0000000038A8: 259D9A90
	v_and_b32_e32 v205, 0xffff0000, v204                       // 0000000038AC: 279B98FF FFFF0000
	v_lshlrev_b32_e32 v204, 16, v204                           // 0000000038B4: 25999890
	v_mul_f32_dpp v176, v14, v176 row_newbcast:0 row_mask:0xf bank_mask:0xf// 0000000038B8: 0B6160FA FF01500E
	v_mul_f32_dpp v177, v14, v177 row_newbcast:1 row_mask:0xf bank_mask:0xf// 0000000038C0: 0B6362FA FF01510E
	v_mul_f32_dpp v178, v14, v178 row_newbcast:2 row_mask:0xf bank_mask:0xf// 0000000038C8: 0B6564FA FF01520E
	v_mul_f32_dpp v179, v14, v179 row_newbcast:3 row_mask:0xf bank_mask:0xf// 0000000038D0: 0B6766FA FF01530E
	v_mul_f32_dpp v180, v14, v180 row_newbcast:0 row_mask:0xf bank_mask:0xf// 0000000038D8: 0B6968FA FF01500E
	v_mul_f32_dpp v181, v14, v181 row_newbcast:1 row_mask:0xf bank_mask:0xf// 0000000038E0: 0B6B6AFA FF01510E
	v_mul_f32_dpp v182, v14, v182 row_newbcast:2 row_mask:0xf bank_mask:0xf// 0000000038E8: 0B6D6CFA FF01520E
	v_mul_f32_dpp v183, v14, v183 row_newbcast:3 row_mask:0xf bank_mask:0xf// 0000000038F0: 0B6F6EFA FF01530E
	v_mul_f32_dpp v184, v14, v184 row_newbcast:4 row_mask:0xf bank_mask:0xf// 0000000038F8: 0B7170FA FF01540E
	v_mul_f32_dpp v185, v14, v185 row_newbcast:5 row_mask:0xf bank_mask:0xf// 000000003900: 0B7372FA FF01550E
	v_mul_f32_dpp v186, v14, v186 row_newbcast:6 row_mask:0xf bank_mask:0xf// 000000003908: 0B7574FA FF01560E
	v_mul_f32_dpp v187, v14, v187 row_newbcast:7 row_mask:0xf bank_mask:0xf// 000000003910: 0B7776FA FF01570E
	v_mul_f32_dpp v188, v14, v188 row_newbcast:4 row_mask:0xf bank_mask:0xf// 000000003918: 0B7978FA FF01540E
	v_mul_f32_dpp v189, v14, v189 row_newbcast:5 row_mask:0xf bank_mask:0xf// 000000003920: 0B7B7AFA FF01550E
	v_mul_f32_dpp v190, v14, v190 row_newbcast:6 row_mask:0xf bank_mask:0xf// 000000003928: 0B7D7CFA FF01560E
	v_mul_f32_dpp v191, v14, v191 row_newbcast:7 row_mask:0xf bank_mask:0xf// 000000003930: 0B7F7EFA FF01570E
	v_mul_f32_dpp v192, v14, v192 row_newbcast:8 row_mask:0xf bank_mask:0xf// 000000003938: 0B8180FA FF01580E
	v_mul_f32_dpp v193, v14, v193 row_newbcast:9 row_mask:0xf bank_mask:0xf// 000000003940: 0B8382FA FF01590E
	v_mul_f32_dpp v194, v14, v194 row_newbcast:10 row_mask:0xf bank_mask:0xf// 000000003948: 0B8584FA FF015A0E
	v_mul_f32_dpp v195, v14, v195 row_newbcast:11 row_mask:0xf bank_mask:0xf// 000000003950: 0B8786FA FF015B0E
	v_mul_f32_dpp v196, v14, v196 row_newbcast:8 row_mask:0xf bank_mask:0xf// 000000003958: 0B8988FA FF01580E
	v_mul_f32_dpp v197, v14, v197 row_newbcast:9 row_mask:0xf bank_mask:0xf// 000000003960: 0B8B8AFA FF01590E
	v_mul_f32_dpp v198, v14, v198 row_newbcast:10 row_mask:0xf bank_mask:0xf// 000000003968: 0B8D8CFA FF015A0E
	v_mul_f32_dpp v199, v14, v199 row_newbcast:11 row_mask:0xf bank_mask:0xf// 000000003970: 0B8F8EFA FF015B0E
	v_mul_f32_dpp v200, v14, v200 row_newbcast:12 row_mask:0xf bank_mask:0xf// 000000003978: 0B9190FA FF015C0E
	v_mul_f32_dpp v201, v14, v201 row_newbcast:13 row_mask:0xf bank_mask:0xf// 000000003980: 0B9392FA FF015D0E
	v_mul_f32_dpp v202, v14, v202 row_newbcast:14 row_mask:0xf bank_mask:0xf// 000000003988: 0B9594FA FF015E0E
	v_mul_f32_dpp v203, v14, v203 row_newbcast:15 row_mask:0xf bank_mask:0xf// 000000003990: 0B9796FA FF015F0E
	v_mul_f32_dpp v204, v14, v204 row_newbcast:12 row_mask:0xf bank_mask:0xf// 000000003998: 0B9998FA FF015C0E
	v_mul_f32_dpp v205, v14, v205 row_newbcast:13 row_mask:0xf bank_mask:0xf// 0000000039A0: 0B9B9AFA FF015D0E
	v_mul_f32_dpp v206, v14, v206 row_newbcast:14 row_mask:0xf bank_mask:0xf// 0000000039A8: 0B9D9CFA FF015E0E
	v_mul_f32_dpp v207, v14, v207 row_newbcast:15 row_mask:0xf bank_mask:0xf// 0000000039B0: 0B9F9EFA FF015F0E
	v_mov_b32_e32 v46, 0x358637bd                              // 0000000039B8: 7E5C02FF 358637BD
	v_mov_b32_e32 v47, 0x358637bd                              // 0000000039C0: 7E5E02FF 358637BD
	v_max3_f32 v46, |v176|, |v177|, v46                        // 0000000039C8: D1D3032E 04BB63B0
	v_max3_f32 v46, |v178|, |v179|, v46                        // 0000000039D0: D1D3032E 04BB67B2
	v_max3_f32 v47, |v180|, |v181|, v47                        // 0000000039D8: D1D3032F 04BF6BB4
	v_max3_f32 v47, |v182|, |v183|, v47                        // 0000000039E0: D1D3032F 04BF6FB6
	v_max3_f32 v46, |v184|, |v185|, v46                        // 0000000039E8: D1D3032E 04BB73B8
	v_max3_f32 v46, |v186|, |v187|, v46                        // 0000000039F0: D1D3032E 04BB77BA
	v_max3_f32 v47, |v188|, |v189|, v47                        // 0000000039F8: D1D3032F 04BF7BBC
	v_max3_f32 v47, |v190|, |v191|, v47                        // 000000003A00: D1D3032F 04BF7FBE
	v_max3_f32 v46, |v192|, |v193|, v46                        // 000000003A08: D1D3032E 04BB83C0
	v_max3_f32 v46, |v194|, |v195|, v46                        // 000000003A10: D1D3032E 04BB87C2
	v_max3_f32 v47, |v196|, |v197|, v47                        // 000000003A18: D1D3032F 04BF8BC4
	v_max3_f32 v47, |v198|, |v199|, v47                        // 000000003A20: D1D3032F 04BF8FC6
	v_max3_f32 v46, |v200|, |v201|, v46                        // 000000003A28: D1D3032E 04BB93C8
	v_max3_f32 v46, |v202|, |v203|, v46                        // 000000003A30: D1D3032E 04BB97CA
	v_max3_f32 v47, |v204|, |v205|, v47                        // 000000003A38: D1D3032F 04BF9BCC
	v_max3_f32 v47, |v206|, |v207|, v47                        // 000000003A40: D1D3032F 04BF9FCE
	ds_write_b64 v3, v[46:47]                                  // 000000003A48: D89A0000 00002E03
	s_waitcnt lgkmcnt(0)                                       // 000000003A50: BF8CC07F
	s_barrier                                                  // 000000003A54: BF8A0000
	ds_read_b64 v[46:47], v4                                   // 000000003A58: D8EC0000 2E000004
	ds_read_b64 v[48:49], v4 offset:128                        // 000000003A60: D8EC0080 30000004
	ds_read_b64 v[50:51], v4 offset:256                        // 000000003A68: D8EC0100 32000004
	ds_read_b64 v[52:53], v4 offset:384                        // 000000003A70: D8EC0180 34000004
	ds_read_b64 v[54:55], v4 offset:512                        // 000000003A78: D8EC0200 36000004
	ds_read_b64 v[56:57], v4 offset:640                        // 000000003A80: D8EC0280 38000004
	ds_read_b64 v[58:59], v4 offset:768                        // 000000003A88: D8EC0300 3A000004
	ds_read_b64 v[60:61], v4 offset:896                        // 000000003A90: D8EC0380 3C000004
	s_waitcnt lgkmcnt(0)                                       // 000000003A98: BF8CC07F
	v_mov_b32_e32 v22, 0x358637bd                              // 000000003A9C: 7E2C02FF 358637BD
	v_mov_b32_e32 v23, 0x358637bd                              // 000000003AA4: 7E2E02FF 358637BD
	v_max3_f32 v22, |v46|, |v48|, v22                          // 000000003AAC: D1D30316 045A612E
	v_max3_f32 v23, |v47|, |v49|, v23                          // 000000003AB4: D1D30317 045E632F
	v_max3_f32 v22, |v50|, |v52|, v22                          // 000000003ABC: D1D30316 045A6932
	v_max3_f32 v23, |v51|, |v53|, v23                          // 000000003AC4: D1D30317 045E6B33
	v_max3_f32 v22, |v54|, |v56|, v22                          // 000000003ACC: D1D30316 045A7136
	v_max3_f32 v23, |v55|, |v57|, v23                          // 000000003AD4: D1D30317 045E7337
	v_max3_f32 v22, |v58|, |v60|, v22                          // 000000003ADC: D1D30316 045A793A
	v_max3_f32 v23, |v59|, |v61|, v23                          // 000000003AE4: D1D30317 045E7B3B
	ds_read_b64 v[46:47], v4 offset:1024                       // 000000003AEC: D8EC0400 2E000004
	ds_read_b64 v[48:49], v4 offset:1152                       // 000000003AF4: D8EC0480 30000004
	ds_read_b64 v[50:51], v4 offset:1280                       // 000000003AFC: D8EC0500 32000004
	ds_read_b64 v[52:53], v4 offset:1408                       // 000000003B04: D8EC0580 34000004
	ds_read_b64 v[54:55], v4 offset:1536                       // 000000003B0C: D8EC0600 36000004
	ds_read_b64 v[56:57], v4 offset:1664                       // 000000003B14: D8EC0680 38000004
	ds_read_b64 v[58:59], v4 offset:1792                       // 000000003B1C: D8EC0700 3A000004
	ds_read_b64 v[60:61], v4 offset:1920                       // 000000003B24: D8EC0780 3C000004
	s_waitcnt lgkmcnt(0)                                       // 000000003B2C: BF8CC07F
	v_max3_f32 v22, |v46|, |v48|, v22                          // 000000003B30: D1D30316 045A612E
	v_max3_f32 v23, |v47|, |v49|, v23                          // 000000003B38: D1D30317 045E632F
	v_max3_f32 v22, |v50|, |v52|, v22                          // 000000003B40: D1D30316 045A6932
	v_max3_f32 v23, |v51|, |v53|, v23                          // 000000003B48: D1D30317 045E6B33
	v_max3_f32 v22, |v54|, |v56|, v22                          // 000000003B50: D1D30316 045A7136
	v_max3_f32 v23, |v55|, |v57|, v23                          // 000000003B58: D1D30317 045E7337
	v_max3_f32 v22, |v58|, |v60|, v22                          // 000000003B60: D1D30316 045A793A
	v_max3_f32 v23, |v59|, |v61|, v23                          // 000000003B68: D1D30317 045E7B3B
	v_mov_b32_e32 v42, 0x42fe0000                              // 000000003B70: 7E5402FF 42FE0000
	v_rcp_f32_e32 v22, v22                                     // 000000003B78: 7E2C4516
	v_rcp_f32_e32 v23, v23                                     // 000000003B7C: 7E2E4517
	s_nop 1                                                    // 000000003B80: BF800001
	v_mul_f32_e32 v22, v42, v22                                // 000000003B84: 0A2C2D2A
	v_mul_f32_e32 v23, v42, v23                                // 000000003B88: 0A2E2F2A
	v_rcp_f32_e32 v24, v22                                     // 000000003B8C: 7E304516
	v_rcp_f32_e32 v25, v23                                     // 000000003B90: 7E324517
	v_mov_b32_e32 v42, v22                                     // 000000003B94: 7E540316
	v_mov_b32_e32 v43, v22                                     // 000000003B98: 7E560316
	v_mov_b32_e32 v44, v23                                     // 000000003B9C: 7E580317
	v_mov_b32_e32 v45, v23                                     // 000000003BA0: 7E5A0317
	v_pk_mul_f32 v[176:177], v[42:43], v[176:177]              // 000000003BA4: D3B140B0 1803612A
	v_pk_mul_f32 v[178:179], v[42:43], v[178:179]              // 000000003BAC: D3B140B2 1803652A
	v_cvt_i32_f32_e32 v176, v176                               // 000000003BB4: 7F6011B0
	v_cvt_i32_f32_e32 v177, v177                               // 000000003BB8: 7F6211B1
	v_cvt_i32_f32_e32 v178, v178                               // 000000003BBC: 7F6411B2
	v_cvt_i32_f32_e32 v179, v179                               // 000000003BC0: 7F6611B3
	v_perm_b32 v176, v177, v176, s53                           // 000000003BC4: D1ED00B0 00D761B1
	v_perm_b32 v176, v178, v176, s54                           // 000000003BCC: D1ED00B0 00DB61B2
	v_perm_b32 v176, v179, v176, s55                           // 000000003BD4: D1ED00B0 00DF61B3
	v_pk_mul_f32 v[180:181], v[44:45], v[180:181]              // 000000003BDC: D3B140B4 1803692C
	v_pk_mul_f32 v[182:183], v[44:45], v[182:183]              // 000000003BE4: D3B140B6 18036D2C
	v_cvt_i32_f32_e32 v180, v180                               // 000000003BEC: 7F6811B4
	v_cvt_i32_f32_e32 v181, v181                               // 000000003BF0: 7F6A11B5
	v_cvt_i32_f32_e32 v182, v182                               // 000000003BF4: 7F6C11B6
	v_cvt_i32_f32_e32 v183, v183                               // 000000003BF8: 7F6E11B7
	v_perm_b32 v177, v181, v180, s53                           // 000000003BFC: D1ED00B1 00D769B5
	v_perm_b32 v177, v182, v177, s54                           // 000000003C04: D1ED00B1 00DB63B6
	v_perm_b32 v177, v183, v177, s55                           // 000000003C0C: D1ED00B1 00DF63B7
	v_pk_mul_f32 v[184:185], v[42:43], v[184:185]              // 000000003C14: D3B140B8 1803712A
	v_pk_mul_f32 v[186:187], v[42:43], v[186:187]              // 000000003C1C: D3B140BA 1803752A
	v_cvt_i32_f32_e32 v184, v184                               // 000000003C24: 7F7011B8
	v_cvt_i32_f32_e32 v185, v185                               // 000000003C28: 7F7211B9
	v_cvt_i32_f32_e32 v186, v186                               // 000000003C2C: 7F7411BA
	v_cvt_i32_f32_e32 v187, v187                               // 000000003C30: 7F7611BB
	v_perm_b32 v178, v185, v184, s53                           // 000000003C34: D1ED00B2 00D771B9
	v_perm_b32 v178, v186, v178, s54                           // 000000003C3C: D1ED00B2 00DB65BA
	v_perm_b32 v178, v187, v178, s55                           // 000000003C44: D1ED00B2 00DF65BB
	v_pk_mul_f32 v[188:189], v[44:45], v[188:189]              // 000000003C4C: D3B140BC 1803792C
	v_pk_mul_f32 v[190:191], v[44:45], v[190:191]              // 000000003C54: D3B140BE 18037D2C
	v_cvt_i32_f32_e32 v188, v188                               // 000000003C5C: 7F7811BC
	v_cvt_i32_f32_e32 v189, v189                               // 000000003C60: 7F7A11BD
	v_cvt_i32_f32_e32 v190, v190                               // 000000003C64: 7F7C11BE
	v_cvt_i32_f32_e32 v191, v191                               // 000000003C68: 7F7E11BF
	v_perm_b32 v179, v189, v188, s53                           // 000000003C6C: D1ED00B3 00D779BD
	v_perm_b32 v179, v190, v179, s54                           // 000000003C74: D1ED00B3 00DB67BE
	v_perm_b32 v179, v191, v179, s55                           // 000000003C7C: D1ED00B3 00DF67BF
	v_pk_mul_f32 v[192:193], v[42:43], v[192:193]              // 000000003C84: D3B140C0 1803812A
	v_pk_mul_f32 v[194:195], v[42:43], v[194:195]              // 000000003C8C: D3B140C2 1803852A
	v_cvt_i32_f32_e32 v192, v192                               // 000000003C94: 7F8011C0
	v_cvt_i32_f32_e32 v193, v193                               // 000000003C98: 7F8211C1
	v_cvt_i32_f32_e32 v194, v194                               // 000000003C9C: 7F8411C2
	v_cvt_i32_f32_e32 v195, v195                               // 000000003CA0: 7F8611C3
	v_perm_b32 v180, v193, v192, s53                           // 000000003CA4: D1ED00B4 00D781C1
	v_perm_b32 v180, v194, v180, s54                           // 000000003CAC: D1ED00B4 00DB69C2
	v_perm_b32 v180, v195, v180, s55                           // 000000003CB4: D1ED00B4 00DF69C3
	v_pk_mul_f32 v[196:197], v[44:45], v[196:197]              // 000000003CBC: D3B140C4 1803892C
	v_pk_mul_f32 v[198:199], v[44:45], v[198:199]              // 000000003CC4: D3B140C6 18038D2C
	v_cvt_i32_f32_e32 v196, v196                               // 000000003CCC: 7F8811C4
	v_cvt_i32_f32_e32 v197, v197                               // 000000003CD0: 7F8A11C5
	v_cvt_i32_f32_e32 v198, v198                               // 000000003CD4: 7F8C11C6
	v_cvt_i32_f32_e32 v199, v199                               // 000000003CD8: 7F8E11C7
	v_perm_b32 v181, v197, v196, s53                           // 000000003CDC: D1ED00B5 00D789C5
	v_perm_b32 v181, v198, v181, s54                           // 000000003CE4: D1ED00B5 00DB6BC6
	v_perm_b32 v181, v199, v181, s55                           // 000000003CEC: D1ED00B5 00DF6BC7
	v_pk_mul_f32 v[200:201], v[42:43], v[200:201]              // 000000003CF4: D3B140C8 1803912A
	v_pk_mul_f32 v[202:203], v[42:43], v[202:203]              // 000000003CFC: D3B140CA 1803952A
	v_cvt_i32_f32_e32 v200, v200                               // 000000003D04: 7F9011C8
	v_cvt_i32_f32_e32 v201, v201                               // 000000003D08: 7F9211C9
	v_cvt_i32_f32_e32 v202, v202                               // 000000003D0C: 7F9411CA
	v_cvt_i32_f32_e32 v203, v203                               // 000000003D10: 7F9611CB
	v_perm_b32 v182, v201, v200, s53                           // 000000003D14: D1ED00B6 00D791C9
	v_perm_b32 v182, v202, v182, s54                           // 000000003D1C: D1ED00B6 00DB6DCA
	v_perm_b32 v182, v203, v182, s55                           // 000000003D24: D1ED00B6 00DF6DCB
	v_pk_mul_f32 v[204:205], v[44:45], v[204:205]              // 000000003D2C: D3B140CC 1803992C
	v_pk_mul_f32 v[206:207], v[44:45], v[206:207]              // 000000003D34: D3B140CE 18039D2C
	v_cvt_i32_f32_e32 v204, v204                               // 000000003D3C: 7F9811CC
	v_cvt_i32_f32_e32 v205, v205                               // 000000003D40: 7F9A11CD
	v_cvt_i32_f32_e32 v206, v206                               // 000000003D44: 7F9C11CE
	v_cvt_i32_f32_e32 v207, v207                               // 000000003D48: 7F9E11CF
	v_perm_b32 v183, v205, v204, s53                           // 000000003D4C: D1ED00B7 00D799CD
	v_perm_b32 v183, v206, v183, s54                           // 000000003D54: D1ED00B7 00DB6FCE
	v_perm_b32 v183, v207, v183, s55                           // 000000003D5C: D1ED00B7 00DF6FCF
	ds_write_b32 v12, v176 offset:2048                         // 000000003D64: D81A0800 0000B00C
	ds_write_b32 v12, v177 offset:6144                         // 000000003D6C: D81A1800 0000B10C
	ds_write_b32 v12, v178 offset:3072                         // 000000003D74: D81A0C00 0000B20C
	ds_write_b32 v12, v179 offset:7168                         // 000000003D7C: D81A1C00 0000B30C
	ds_write_b32 v12, v180 offset:4096                         // 000000003D84: D81A1000 0000B40C
	ds_write_b32 v12, v181 offset:8192                         // 000000003D8C: D81A2000 0000B50C
	ds_write_b32 v12, v182 offset:5120                         // 000000003D94: D81A1400 0000B60C
	ds_write_b32 v12, v183 offset:9216                         // 000000003D9C: D81A2400 0000B70C
	s_waitcnt lgkmcnt(0)                                       // 000000003DA4: BF8CC07F
	s_barrier                                                  // 000000003DA8: BF8A0000
	ds_read_b64 v[176:177], v13 offset:2048                    // 000000003DAC: D8EC0800 B000000D
	ds_read_b64 v[178:179], v13 offset:2176                    // 000000003DB4: D8EC0880 B200000D
	ds_read_b64 v[180:181], v13 offset:3072                    // 000000003DBC: D8EC0C00 B400000D
	ds_read_b64 v[182:183], v13 offset:3200                    // 000000003DC4: D8EC0C80 B600000D
	ds_read_b64 v[184:185], v13 offset:4096                    // 000000003DCC: D8EC1000 B800000D
	ds_read_b64 v[186:187], v13 offset:4224                    // 000000003DD4: D8EC1080 BA00000D
	ds_read_b64 v[188:189], v13 offset:5120                    // 000000003DDC: D8EC1400 BC00000D
	ds_read_b64 v[190:191], v13 offset:5248                    // 000000003DE4: D8EC1480 BE00000D
	ds_read_b64 v[192:193], v13 offset:6144                    // 000000003DEC: D8EC1800 C000000D
	ds_read_b64 v[194:195], v13 offset:6272                    // 000000003DF4: D8EC1880 C200000D
	ds_read_b64 v[196:197], v13 offset:7168                    // 000000003DFC: D8EC1C00 C400000D
	ds_read_b64 v[198:199], v13 offset:7296                    // 000000003E04: D8EC1C80 C600000D
	ds_read_b64 v[200:201], v13 offset:8192                    // 000000003E0C: D8EC2000 C800000D
	ds_read_b64 v[202:203], v13 offset:8320                    // 000000003E14: D8EC2080 CA00000D
	ds_read_b64 v[204:205], v13 offset:9216                    // 000000003E1C: D8EC2400 CC00000D
	ds_read_b64 v[206:207], v13 offset:9344                    // 000000003E24: D8EC2480 CE00000D
	s_cmp_lt_i32 s5, 2                                         // 000000003E2C: BF048205
	s_cbranch_scc0 label_1858                                  // 000000003E30: BF84144B

0000000000003e34 <label_040D>:
	v_mov_b32_e32 v248, v24                                    // 000000003E34: 7FF00318
	v_mov_b32_e32 v250, v25                                    // 000000003E38: 7FF40319
	v_mov_b32_e32 v249, v248                                   // 000000003E3C: 7FF203F8
	v_mov_b32_e32 v251, v250                                   // 000000003E40: 7FF603FA
	s_waitcnt vmcnt(16) lgkmcnt(0)                             // 000000003E44: BF8C4070
	s_barrier                                                  // 000000003E48: BF8A0000
	v_mfma_i32_16x16x32_i8 v[240:243], a[0:1], v[176:177], 0   // 000000003E4C: D3D700F0 0A036100
	v_mfma_i32_16x16x32_i8 v[240:243], a[2:3], v[178:179], v[240:243]// 000000003E54: D3D700F0 0FC36502
	buffer_load_dwordx4 a[96:99], v36, s[92:95], 0 offen       // 000000003E5C: E05C1000 80976024
	v_mfma_i32_16x16x32_i8 v[240:243], a[4:5], v[180:181], v[240:243]// 000000003E64: D3D700F0 0FC36904
	v_mfma_i32_16x16x32_i8 v[240:243], a[6:7], v[182:183], v[240:243]// 000000003E6C: D3D700F0 0FC36D06
	buffer_load_dword v28, s[20:23], 0 offen lds               // 000000003E74: E0511000 8005001C
	buffer_load_dword v28, s[20:23], 0 offen offset:256 lds    // 000000003E7C: E0511100 8005001C
	s_add_u32 m0, 0x820, s51                                   // 000000003E84: 807C33FF 00000820
	v_mfma_i32_16x16x32_i8 v[240:243], a[8:9], v[184:185], v[240:243]// 000000003E8C: D3D700F0 0FC37108
	v_mfma_i32_16x16x32_i8 v[240:243], a[10:11], v[186:187], v[240:243]// 000000003E94: D3D700F0 0FC3750A
	buffer_load_dwordx4 a[100:103], v36, s[92:95], 0 offen offset:1024// 000000003E9C: E05C1400 80976424
	v_mfma_i32_16x16x32_i8 v[240:243], a[12:13], v[188:189], v[240:243]// 000000003EA4: D3D700F0 0FC3790C
	v_mfma_i32_16x16x32_i8 v[240:243], a[14:15], v[190:191], v[240:243]// 000000003EAC: D3D700F0 0FC37D0E
	buffer_load_dword v29, s[20:23], 0 offen lds               // 000000003EB4: E0511000 8005001D
	buffer_load_dword v29, s[20:23], 0 offen offset:256 lds    // 000000003EBC: E0511100 8005001D
	s_add_u32 m0, 0x1040, s51                                  // 000000003EC4: 807C33FF 00001040
	v_mfma_i32_16x16x32_i8 v[244:247], a[0:1], v[192:193], 0   // 000000003ECC: D3D700F4 0A038100
	v_mfma_i32_16x16x32_i8 v[244:247], a[2:3], v[194:195], v[244:247]// 000000003ED4: D3D700F4 0FD38502
	buffer_load_dwordx4 a[104:107], v36, s[92:95], 0 offen offset:2048// 000000003EDC: E05C1800 80976824
	v_mfma_i32_16x16x32_i8 v[244:247], a[4:5], v[196:197], v[244:247]// 000000003EE4: D3D700F4 0FD38904
	v_mfma_i32_16x16x32_i8 v[244:247], a[6:7], v[198:199], v[244:247]// 000000003EEC: D3D700F4 0FD38D06
	buffer_load_dword v30, s[20:23], 0 offen lds               // 000000003EF4: E0511000 8005001E
	buffer_load_dword v30, s[20:23], 0 offen offset:256 lds    // 000000003EFC: E0511100 8005001E
	s_add_u32 m0, 0x1860, s51                                  // 000000003F04: 807C33FF 00001860
	v_mfma_i32_16x16x32_i8 v[244:247], a[8:9], v[200:201], v[244:247]// 000000003F0C: D3D700F4 0FD39108
	v_mfma_i32_16x16x32_i8 v[244:247], a[10:11], v[202:203], v[244:247]// 000000003F14: D3D700F4 0FD3950A
	buffer_load_dwordx4 a[108:111], v36, s[92:95], 0 offen offset:3072// 000000003F1C: E05C1C00 80976C24
	v_mfma_i32_16x16x32_i8 v[244:247], a[12:13], v[204:205], v[244:247]// 000000003F24: D3D700F4 0FD3990C
	v_mfma_i32_16x16x32_i8 v[244:247], a[14:15], v[206:207], v[244:247]// 000000003F2C: D3D700F4 0FD39D0E
	buffer_load_dword v31, s[20:23], 0 offen lds               // 000000003F34: E0511000 8005001F
	buffer_load_dword v31, s[20:23], 0 offen offset:256 lds    // 000000003F3C: E0511100 8005001F
	s_add_u32 m0, 0x2080, s51                                  // 000000003F44: 807C33FF 00002080
	v_cvt_f32_i32_e32 v240, v240                               // 000000003F4C: 7FE00BF0
	v_cvt_f32_i32_e32 v241, v241                               // 000000003F50: 7FE20BF1
	v_cvt_f32_i32_e32 v242, v242                               // 000000003F54: 7FE40BF2
	v_cvt_f32_i32_e32 v243, v243                               // 000000003F58: 7FE60BF3
	v_pk_fma_f32 v[128:129], v[240:241], v[248:249], v[128:129]// 000000003F5C: D3B04080 1E03F1F0
	v_pk_fma_f32 v[130:131], v[242:243], v[248:249], v[130:131]// 000000003F64: D3B04082 1E0BF1F2
	v_mfma_i32_16x16x32_i8 v[240:243], a[16:17], v[176:177], 0 // 000000003F6C: D3D700F0 0A036110
	v_mfma_i32_16x16x32_i8 v[240:243], a[18:19], v[178:179], v[240:243]// 000000003F74: D3D700F0 0FC36512
	buffer_load_dwordx4 a[112:115], v37, s[92:95], 0 offen     // 000000003F7C: E05C1000 80977025
	v_mfma_i32_16x16x32_i8 v[240:243], a[20:21], v[180:181], v[240:243]// 000000003F84: D3D700F0 0FC36914
	v_mfma_i32_16x16x32_i8 v[240:243], a[22:23], v[182:183], v[240:243]// 000000003F8C: D3D700F0 0FC36D16
	buffer_load_dword v32, s[20:23], 0 offen lds               // 000000003F94: E0511000 80050020
	buffer_load_dword v32, s[20:23], 0 offen offset:256 lds    // 000000003F9C: E0511100 80050020
	s_add_u32 m0, 0x28a0, s51                                  // 000000003FA4: 807C33FF 000028A0
	v_mfma_i32_16x16x32_i8 v[240:243], a[24:25], v[184:185], v[240:243]// 000000003FAC: D3D700F0 0FC37118
	v_mfma_i32_16x16x32_i8 v[240:243], a[26:27], v[186:187], v[240:243]// 000000003FB4: D3D700F0 0FC3751A
	buffer_load_dwordx4 a[116:119], v37, s[92:95], 0 offen offset:1024// 000000003FBC: E05C1400 80977425
	v_mfma_i32_16x16x32_i8 v[240:243], a[28:29], v[188:189], v[240:243]// 000000003FC4: D3D700F0 0FC3791C
	v_mfma_i32_16x16x32_i8 v[240:243], a[30:31], v[190:191], v[240:243]// 000000003FCC: D3D700F0 0FC37D1E
	buffer_load_dword v33, s[20:23], 0 offen lds               // 000000003FD4: E0511000 80050021
	buffer_load_dword v33, s[20:23], 0 offen offset:256 lds    // 000000003FDC: E0511100 80050021
	s_add_u32 m0, 0x30c0, s51                                  // 000000003FE4: 807C33FF 000030C0
	v_cvt_f32_i32_e32 v244, v244                               // 000000003FEC: 7FE80BF4
	v_cvt_f32_i32_e32 v245, v245                               // 000000003FF0: 7FEA0BF5
	v_cvt_f32_i32_e32 v246, v246                               // 000000003FF4: 7FEC0BF6
	v_cvt_f32_i32_e32 v247, v247                               // 000000003FF8: 7FEE0BF7
	v_pk_fma_f32 v[132:133], v[244:245], v[250:251], v[132:133]// 000000003FFC: D3B04084 1E13F5F4
	v_pk_fma_f32 v[134:135], v[246:247], v[250:251], v[134:135]// 000000004004: D3B04086 1E1BF5F6
	v_mfma_i32_16x16x32_i8 v[244:247], a[16:17], v[192:193], 0 // 00000000400C: D3D700F4 0A038110
	v_mfma_i32_16x16x32_i8 v[244:247], a[18:19], v[194:195], v[244:247]// 000000004014: D3D700F4 0FD38512
	buffer_load_dwordx4 a[120:123], v37, s[92:95], 0 offen offset:2048// 00000000401C: E05C1800 80977825
	v_mfma_i32_16x16x32_i8 v[244:247], a[20:21], v[196:197], v[244:247]// 000000004024: D3D700F4 0FD38914
	v_mfma_i32_16x16x32_i8 v[244:247], a[22:23], v[198:199], v[244:247]// 00000000402C: D3D700F4 0FD38D16
	buffer_load_dword v34, s[20:23], 0 offen lds               // 000000004034: E0511000 80050022
	buffer_load_dword v34, s[20:23], 0 offen offset:256 lds    // 00000000403C: E0511100 80050022
	s_add_u32 m0, 0x38e0, s51                                  // 000000004044: 807C33FF 000038E0
	v_mfma_i32_16x16x32_i8 v[244:247], a[24:25], v[200:201], v[244:247]// 00000000404C: D3D700F4 0FD39118
	v_mfma_i32_16x16x32_i8 v[244:247], a[26:27], v[202:203], v[244:247]// 000000004054: D3D700F4 0FD3951A
	buffer_load_dwordx4 a[124:127], v37, s[92:95], 0 offen offset:3072// 00000000405C: E05C1C00 80977C25
	v_mfma_i32_16x16x32_i8 v[244:247], a[28:29], v[204:205], v[244:247]// 000000004064: D3D700F4 0FD3991C
	v_mfma_i32_16x16x32_i8 v[244:247], a[30:31], v[206:207], v[244:247]// 00000000406C: D3D700F4 0FD39D1E
	buffer_load_dword v35, s[20:23], 0 offen lds               // 000000004074: E0511000 80050023
	buffer_load_dword v35, s[20:23], 0 offen offset:256 lds    // 00000000407C: E0511100 80050023
	s_add_u32 m0, 0, s50                                       // 000000004084: 807C3280
	buffer_load_dword v15, v6, s[28:31], 0 offen               // 000000004088: E0501000 80070F06
	v_cvt_f32_i32_e32 v240, v240                               // 000000004090: 7FE00BF0
	v_cvt_f32_i32_e32 v241, v241                               // 000000004094: 7FE20BF1
	v_cvt_f32_i32_e32 v242, v242                               // 000000004098: 7FE40BF2
	v_cvt_f32_i32_e32 v243, v243                               // 00000000409C: 7FE60BF3
	v_pk_fma_f32 v[136:137], v[240:241], v[248:249], v[136:137]// 0000000040A0: D3B04088 1E23F1F0
	v_pk_fma_f32 v[138:139], v[242:243], v[248:249], v[138:139]// 0000000040A8: D3B0408A 1E2BF1F2
	s_waitcnt vmcnt(37)                                        // 0000000040B0: BF8C8F75
	v_mfma_i32_16x16x32_i8 v[240:243], a[32:33], v[176:177], 0 // 0000000040B4: D3D700F0 0A036120
	v_mfma_i32_16x16x32_i8 v[240:243], a[34:35], v[178:179], v[240:243]// 0000000040BC: D3D700F0 0FC36522
	buffer_load_dwordx4 a[128:131], v38, s[92:95], 0 offen     // 0000000040C4: E05C1000 80978026
	v_mfma_i32_16x16x32_i8 v[240:243], a[36:37], v[180:181], v[240:243]// 0000000040CC: D3D700F0 0FC36924
	v_mfma_i32_16x16x32_i8 v[240:243], a[38:39], v[182:183], v[240:243]// 0000000040D4: D3D700F0 0FC36D26
	v_mfma_i32_16x16x32_i8 v[240:243], a[40:41], v[184:185], v[240:243]// 0000000040DC: D3D700F0 0FC37128
	v_mfma_i32_16x16x32_i8 v[240:243], a[42:43], v[186:187], v[240:243]// 0000000040E4: D3D700F0 0FC3752A
	buffer_load_dwordx4 a[132:135], v38, s[92:95], 0 offen offset:1024// 0000000040EC: E05C1400 80978426
	v_mfma_i32_16x16x32_i8 v[240:243], a[44:45], v[188:189], v[240:243]// 0000000040F4: D3D700F0 0FC3792C
	v_mfma_i32_16x16x32_i8 v[240:243], a[46:47], v[190:191], v[240:243]// 0000000040FC: D3D700F0 0FC37D2E
	v_cvt_f32_i32_e32 v244, v244                               // 000000004104: 7FE80BF4
	v_cvt_f32_i32_e32 v245, v245                               // 000000004108: 7FEA0BF5
	v_cvt_f32_i32_e32 v246, v246                               // 00000000410C: 7FEC0BF6
	v_cvt_f32_i32_e32 v247, v247                               // 000000004110: 7FEE0BF7
	v_pk_fma_f32 v[140:141], v[244:245], v[250:251], v[140:141]// 000000004114: D3B0408C 1E33F5F4
	v_pk_fma_f32 v[142:143], v[246:247], v[250:251], v[142:143]// 00000000411C: D3B0408E 1E3BF5F6
	v_mfma_i32_16x16x32_i8 v[244:247], a[32:33], v[192:193], 0 // 000000004124: D3D700F4 0A038120
	v_mfma_i32_16x16x32_i8 v[244:247], a[34:35], v[194:195], v[244:247]// 00000000412C: D3D700F4 0FD38522
	buffer_load_dwordx4 a[136:139], v38, s[92:95], 0 offen offset:2048// 000000004134: E05C1800 80978826
	v_mfma_i32_16x16x32_i8 v[244:247], a[36:37], v[196:197], v[244:247]// 00000000413C: D3D700F4 0FD38924
	v_mfma_i32_16x16x32_i8 v[244:247], a[38:39], v[198:199], v[244:247]// 000000004144: D3D700F4 0FD38D26
	v_mfma_i32_16x16x32_i8 v[244:247], a[40:41], v[200:201], v[244:247]// 00000000414C: D3D700F4 0FD39128
	v_mfma_i32_16x16x32_i8 v[244:247], a[42:43], v[202:203], v[244:247]// 000000004154: D3D700F4 0FD3952A
	buffer_load_dwordx4 a[140:143], v38, s[92:95], 0 offen offset:3072// 00000000415C: E05C1C00 80978C26
	v_mfma_i32_16x16x32_i8 v[244:247], a[44:45], v[204:205], v[244:247]// 000000004164: D3D700F4 0FD3992C
	v_mfma_i32_16x16x32_i8 v[244:247], a[46:47], v[206:207], v[244:247]// 00000000416C: D3D700F4 0FD39D2E
	v_cvt_f32_i32_e32 v240, v240                               // 000000004174: 7FE00BF0
	v_cvt_f32_i32_e32 v241, v241                               // 000000004178: 7FE20BF1
	v_cvt_f32_i32_e32 v242, v242                               // 00000000417C: 7FE40BF2
	v_cvt_f32_i32_e32 v243, v243                               // 000000004180: 7FE60BF3
	v_pk_fma_f32 v[144:145], v[240:241], v[248:249], v[144:145]// 000000004184: D3B04090 1E43F1F0
	v_pk_fma_f32 v[146:147], v[242:243], v[248:249], v[146:147]// 00000000418C: D3B04092 1E4BF1F2
	s_waitcnt vmcnt(37)                                        // 000000004194: BF8C8F75
	v_mfma_i32_16x16x32_i8 v[240:243], a[48:49], v[176:177], 0 // 000000004198: D3D700F0 0A036130
	v_mfma_i32_16x16x32_i8 v[240:243], a[50:51], v[178:179], v[240:243]// 0000000041A0: D3D700F0 0FC36532
	buffer_load_dwordx4 a[144:147], v39, s[92:95], 0 offen     // 0000000041A8: E05C1000 80979027
	v_mfma_i32_16x16x32_i8 v[240:243], a[52:53], v[180:181], v[240:243]// 0000000041B0: D3D700F0 0FC36934
	v_mfma_i32_16x16x32_i8 v[240:243], a[54:55], v[182:183], v[240:243]// 0000000041B8: D3D700F0 0FC36D36
	v_mfma_i32_16x16x32_i8 v[240:243], a[56:57], v[184:185], v[240:243]// 0000000041C0: D3D700F0 0FC37138
	v_mfma_i32_16x16x32_i8 v[240:243], a[58:59], v[186:187], v[240:243]// 0000000041C8: D3D700F0 0FC3753A
	buffer_load_dwordx4 a[148:151], v39, s[92:95], 0 offen offset:1024// 0000000041D0: E05C1400 80979427
	v_mfma_i32_16x16x32_i8 v[240:243], a[60:61], v[188:189], v[240:243]// 0000000041D8: D3D700F0 0FC3793C
	v_mfma_i32_16x16x32_i8 v[240:243], a[62:63], v[190:191], v[240:243]// 0000000041E0: D3D700F0 0FC37D3E
	v_cvt_f32_i32_e32 v244, v244                               // 0000000041E8: 7FE80BF4
	v_cvt_f32_i32_e32 v245, v245                               // 0000000041EC: 7FEA0BF5
	v_cvt_f32_i32_e32 v246, v246                               // 0000000041F0: 7FEC0BF6
	v_cvt_f32_i32_e32 v247, v247                               // 0000000041F4: 7FEE0BF7
	v_pk_fma_f32 v[148:149], v[244:245], v[250:251], v[148:149]// 0000000041F8: D3B04094 1E53F5F4
	v_pk_fma_f32 v[150:151], v[246:247], v[250:251], v[150:151]// 000000004200: D3B04096 1E5BF5F6
	v_mfma_i32_16x16x32_i8 v[244:247], a[48:49], v[192:193], 0 // 000000004208: D3D700F4 0A038130
	v_mfma_i32_16x16x32_i8 v[244:247], a[50:51], v[194:195], v[244:247]// 000000004210: D3D700F4 0FD38532
	buffer_load_dwordx4 a[152:155], v39, s[92:95], 0 offen offset:2048// 000000004218: E05C1800 80979827
	v_mfma_i32_16x16x32_i8 v[244:247], a[52:53], v[196:197], v[244:247]// 000000004220: D3D700F4 0FD38934
	v_mfma_i32_16x16x32_i8 v[244:247], a[54:55], v[198:199], v[244:247]// 000000004228: D3D700F4 0FD38D36
	v_mfma_i32_16x16x32_i8 v[244:247], a[56:57], v[200:201], v[244:247]// 000000004230: D3D700F4 0FD39138
	v_mfma_i32_16x16x32_i8 v[244:247], a[58:59], v[202:203], v[244:247]// 000000004238: D3D700F4 0FD3953A
	buffer_load_dwordx4 a[156:159], v39, s[92:95], 0 offen offset:3072// 000000004240: E05C1C00 80979C27
	v_mfma_i32_16x16x32_i8 v[244:247], a[60:61], v[204:205], v[244:247]// 000000004248: D3D700F4 0FD3993C
	v_mfma_i32_16x16x32_i8 v[244:247], a[62:63], v[206:207], v[244:247]// 000000004250: D3D700F4 0FD39D3E
	v_cvt_f32_i32_e32 v240, v240                               // 000000004258: 7FE00BF0
	v_cvt_f32_i32_e32 v241, v241                               // 00000000425C: 7FE20BF1
	v_cvt_f32_i32_e32 v242, v242                               // 000000004260: 7FE40BF2
	v_cvt_f32_i32_e32 v243, v243                               // 000000004264: 7FE60BF3
	v_pk_fma_f32 v[152:153], v[240:241], v[248:249], v[152:153]// 000000004268: D3B04098 1E63F1F0
	v_pk_fma_f32 v[154:155], v[242:243], v[248:249], v[154:155]// 000000004270: D3B0409A 1E6BF1F2
	s_waitcnt vmcnt(37)                                        // 000000004278: BF8C8F75
	v_mfma_i32_16x16x32_i8 v[240:243], a[64:65], v[176:177], 0 // 00000000427C: D3D700F0 0A036140
	v_mfma_i32_16x16x32_i8 v[240:243], a[66:67], v[178:179], v[240:243]// 000000004284: D3D700F0 0FC36542
	buffer_load_dwordx4 a[160:163], v40, s[92:95], 0 offen     // 00000000428C: E05C1000 8097A028
	v_mfma_i32_16x16x32_i8 v[240:243], a[68:69], v[180:181], v[240:243]// 000000004294: D3D700F0 0FC36944
	v_mfma_i32_16x16x32_i8 v[240:243], a[70:71], v[182:183], v[240:243]// 00000000429C: D3D700F0 0FC36D46
	v_mfma_i32_16x16x32_i8 v[240:243], a[72:73], v[184:185], v[240:243]// 0000000042A4: D3D700F0 0FC37148
	v_mfma_i32_16x16x32_i8 v[240:243], a[74:75], v[186:187], v[240:243]// 0000000042AC: D3D700F0 0FC3754A
	buffer_load_dwordx4 a[164:167], v40, s[92:95], 0 offen offset:1024// 0000000042B4: E05C1400 8097A428
	v_mfma_i32_16x16x32_i8 v[240:243], a[76:77], v[188:189], v[240:243]// 0000000042BC: D3D700F0 0FC3794C
	v_mfma_i32_16x16x32_i8 v[240:243], a[78:79], v[190:191], v[240:243]// 0000000042C4: D3D700F0 0FC37D4E
	v_cvt_f32_i32_e32 v244, v244                               // 0000000042CC: 7FE80BF4
	v_cvt_f32_i32_e32 v245, v245                               // 0000000042D0: 7FEA0BF5
	v_cvt_f32_i32_e32 v246, v246                               // 0000000042D4: 7FEC0BF6
	v_cvt_f32_i32_e32 v247, v247                               // 0000000042D8: 7FEE0BF7
	v_pk_fma_f32 v[156:157], v[244:245], v[250:251], v[156:157]// 0000000042DC: D3B0409C 1E73F5F4
	v_pk_fma_f32 v[158:159], v[246:247], v[250:251], v[158:159]// 0000000042E4: D3B0409E 1E7BF5F6
	v_mfma_i32_16x16x32_i8 v[244:247], a[64:65], v[192:193], 0 // 0000000042EC: D3D700F4 0A038140
	v_mfma_i32_16x16x32_i8 v[244:247], a[66:67], v[194:195], v[244:247]// 0000000042F4: D3D700F4 0FD38542
	buffer_load_dwordx4 a[168:171], v40, s[92:95], 0 offen offset:2048// 0000000042FC: E05C1800 8097A828
	v_mfma_i32_16x16x32_i8 v[244:247], a[68:69], v[196:197], v[244:247]// 000000004304: D3D700F4 0FD38944
	v_mfma_i32_16x16x32_i8 v[244:247], a[70:71], v[198:199], v[244:247]// 00000000430C: D3D700F4 0FD38D46
	v_mfma_i32_16x16x32_i8 v[244:247], a[72:73], v[200:201], v[244:247]// 000000004314: D3D700F4 0FD39148
	v_mfma_i32_16x16x32_i8 v[244:247], a[74:75], v[202:203], v[244:247]// 00000000431C: D3D700F4 0FD3954A
	buffer_load_dwordx4 a[172:175], v40, s[92:95], 0 offen offset:3072// 000000004324: E05C1C00 8097AC28
	v_mfma_i32_16x16x32_i8 v[244:247], a[76:77], v[204:205], v[244:247]// 00000000432C: D3D700F4 0FD3994C
	v_mfma_i32_16x16x32_i8 v[244:247], a[78:79], v[206:207], v[244:247]// 000000004334: D3D700F4 0FD39D4E
	v_cvt_f32_i32_e32 v240, v240                               // 00000000433C: 7FE00BF0
	v_cvt_f32_i32_e32 v241, v241                               // 000000004340: 7FE20BF1
	v_cvt_f32_i32_e32 v242, v242                               // 000000004344: 7FE40BF2
	v_cvt_f32_i32_e32 v243, v243                               // 000000004348: 7FE60BF3
	v_pk_fma_f32 v[160:161], v[240:241], v[248:249], v[160:161]// 00000000434C: D3B040A0 1E83F1F0
	v_pk_fma_f32 v[162:163], v[242:243], v[248:249], v[162:163]// 000000004354: D3B040A2 1E8BF1F2
	s_waitcnt vmcnt(37)                                        // 00000000435C: BF8C8F75
	v_mfma_i32_16x16x32_i8 v[240:243], a[80:81], v[176:177], 0 // 000000004360: D3D700F0 0A036150
	v_mfma_i32_16x16x32_i8 v[240:243], a[82:83], v[178:179], v[240:243]// 000000004368: D3D700F0 0FC36552
	buffer_load_dwordx4 a[176:179], v41, s[92:95], 0 offen     // 000000004370: E05C1000 8097B029
	v_mfma_i32_16x16x32_i8 v[240:243], a[84:85], v[180:181], v[240:243]// 000000004378: D3D700F0 0FC36954
	v_mfma_i32_16x16x32_i8 v[240:243], a[86:87], v[182:183], v[240:243]// 000000004380: D3D700F0 0FC36D56
	v_mfma_i32_16x16x32_i8 v[240:243], a[88:89], v[184:185], v[240:243]// 000000004388: D3D700F0 0FC37158
	v_mfma_i32_16x16x32_i8 v[240:243], a[90:91], v[186:187], v[240:243]// 000000004390: D3D700F0 0FC3755A
	buffer_load_dwordx4 a[180:183], v41, s[92:95], 0 offen offset:1024// 000000004398: E05C1400 8097B429
	v_mfma_i32_16x16x32_i8 v[240:243], a[92:93], v[188:189], v[240:243]// 0000000043A0: D3D700F0 0FC3795C
	v_mfma_i32_16x16x32_i8 v[240:243], a[94:95], v[190:191], v[240:243]// 0000000043A8: D3D700F0 0FC37D5E
	v_cvt_f32_i32_e32 v244, v244                               // 0000000043B0: 7FE80BF4
	v_cvt_f32_i32_e32 v245, v245                               // 0000000043B4: 7FEA0BF5
	v_cvt_f32_i32_e32 v246, v246                               // 0000000043B8: 7FEC0BF6
	v_cvt_f32_i32_e32 v247, v247                               // 0000000043BC: 7FEE0BF7
	v_pk_fma_f32 v[164:165], v[244:245], v[250:251], v[164:165]// 0000000043C0: D3B040A4 1E93F5F4
	v_pk_fma_f32 v[166:167], v[246:247], v[250:251], v[166:167]// 0000000043C8: D3B040A6 1E9BF5F6
	v_mfma_i32_16x16x32_i8 v[244:247], a[80:81], v[192:193], 0 // 0000000043D0: D3D700F4 0A038150
	v_mfma_i32_16x16x32_i8 v[244:247], a[82:83], v[194:195], v[244:247]// 0000000043D8: D3D700F4 0FD38552
	buffer_load_dwordx4 a[184:187], v41, s[92:95], 0 offen offset:2048// 0000000043E0: E05C1800 8097B829
	v_mfma_i32_16x16x32_i8 v[244:247], a[84:85], v[196:197], v[244:247]// 0000000043E8: D3D700F4 0FD38954
	v_mfma_i32_16x16x32_i8 v[244:247], a[86:87], v[198:199], v[244:247]// 0000000043F0: D3D700F4 0FD38D56
	v_mfma_i32_16x16x32_i8 v[244:247], a[88:89], v[200:201], v[244:247]// 0000000043F8: D3D700F4 0FD39158
	v_mfma_i32_16x16x32_i8 v[244:247], a[90:91], v[202:203], v[244:247]// 000000004400: D3D700F4 0FD3955A
	buffer_load_dwordx4 a[188:191], v41, s[92:95], 0 offen offset:3072// 000000004408: E05C1C00 8097BC29
	v_mfma_i32_16x16x32_i8 v[244:247], a[92:93], v[204:205], v[244:247]// 000000004410: D3D700F4 0FD3995C
	v_mfma_i32_16x16x32_i8 v[244:247], a[94:95], v[206:207], v[244:247]// 000000004418: D3D700F4 0FD39D5E
	v_cvt_f32_i32_e32 v240, v240                               // 000000004420: 7FE00BF0
	v_cvt_f32_i32_e32 v241, v241                               // 000000004424: 7FE20BF1
	v_cvt_f32_i32_e32 v242, v242                               // 000000004428: 7FE40BF2
	v_cvt_f32_i32_e32 v243, v243                               // 00000000442C: 7FE60BF3
	v_pk_fma_f32 v[168:169], v[240:241], v[248:249], v[168:169]// 000000004430: D3B040A8 1EA3F1F0
	v_pk_fma_f32 v[170:171], v[242:243], v[248:249], v[170:171]// 000000004438: D3B040AA 1EABF1F2
	v_cvt_f32_i32_e32 v244, v244                               // 000000004440: 7FE80BF4
	v_cvt_f32_i32_e32 v245, v245                               // 000000004444: 7FEA0BF5
	v_cvt_f32_i32_e32 v246, v246                               // 000000004448: 7FEC0BF6
	v_cvt_f32_i32_e32 v247, v247                               // 00000000444C: 7FEE0BF7
	v_pk_fma_f32 v[172:173], v[244:245], v[250:251], v[172:173]// 000000004450: D3B040AC 1EB3F5F4
	v_pk_fma_f32 v[174:175], v[246:247], v[250:251], v[174:175]// 000000004458: D3B040AE 1EBBF5F6
	s_waitcnt vmcnt(16)                                        // 000000004460: BF8C4F70
	s_barrier                                                  // 000000004464: BF8A0000
	v_mfma_i32_16x16x32_i8 v[240:243], a[96:97], v[176:177], 0 // 000000004468: D3D700F0 0A036160
	ds_read_b64 v[208:209], v2 offset:18688                    // 000000004470: D8EC4900 D0000002
	ds_read_b64 v[212:213], v2 offset:27008                    // 000000004478: D8EC6980 D4000002
	v_mfma_i32_16x16x32_i8 v[240:243], a[98:99], v[178:179], v[240:243]// 000000004480: D3D700F0 0FC36562
	buffer_load_dwordx4 a[0:3], v36, s[24:27], 0 offen         // 000000004488: E05C1000 80860024
	v_mfma_i32_16x16x32_i8 v[240:243], a[100:101], v[180:181], v[240:243]// 000000004490: D3D700F0 0FC36964
	ds_read_b64 v[216:217], v2 offset:18816                    // 000000004498: D8EC4980 D8000002
	ds_read_b64 v[220:221], v2 offset:27136                    // 0000000044A0: D8EC6A00 DC000002
	v_mfma_i32_16x16x32_i8 v[240:243], a[102:103], v[182:183], v[240:243]// 0000000044A8: D3D700F0 0FC36D66
	v_mfma_i32_16x16x32_i8 v[240:243], a[104:105], v[184:185], v[240:243]// 0000000044B0: D3D700F0 0FC37168
	ds_read_b64 v[224:225], v2 offset:18944                    // 0000000044B8: D8EC4A00 E0000002
	ds_read_b64 v[228:229], v2 offset:27264                    // 0000000044C0: D8EC6A80 E4000002
	v_mfma_i32_16x16x32_i8 v[240:243], a[106:107], v[186:187], v[240:243]// 0000000044C8: D3D700F0 0FC3756A
	buffer_load_dwordx4 a[4:7], v36, s[24:27], 0 offen offset:1024// 0000000044D0: E05C1400 80860424
	v_mfma_i32_16x16x32_i8 v[240:243], a[108:109], v[188:189], v[240:243]// 0000000044D8: D3D700F0 0FC3796C
	ds_read_b64 v[232:233], v2 offset:19072                    // 0000000044E0: D8EC4A80 E8000002
	ds_read_b64 v[236:237], v2 offset:27392                    // 0000000044E8: D8EC6B00 EC000002
	v_mfma_i32_16x16x32_i8 v[240:243], a[110:111], v[190:191], v[240:243]// 0000000044F0: D3D700F0 0FC37D6E
	s_waitcnt lgkmcnt(4)                                       // 0000000044F8: BF8CC47F
	v_and_b32_e32 v211, 0xffff0000, v209                       // 0000000044FC: 27A7A2FF FFFF0000
	v_lshlrev_b32_e32 v210, 16, v209                           // 000000004504: 25A5A290
	v_and_b32_e32 v209, 0xffff0000, v208                       // 000000004508: 27A3A0FF FFFF0000
	v_lshlrev_b32_e32 v208, 16, v208                           // 000000004510: 25A1A090
	v_and_b32_e32 v215, 0xffff0000, v213                       // 000000004514: 27AFAAFF FFFF0000
	v_lshlrev_b32_e32 v214, 16, v213                           // 00000000451C: 25ADAA90
	v_and_b32_e32 v213, 0xffff0000, v212                       // 000000004520: 27ABA8FF FFFF0000
	v_lshlrev_b32_e32 v212, 16, v212                           // 000000004528: 25A9A890
	v_and_b32_e32 v219, 0xffff0000, v217                       // 00000000452C: 27B7B2FF FFFF0000
	v_lshlrev_b32_e32 v218, 16, v217                           // 000000004534: 25B5B290
	v_and_b32_e32 v217, 0xffff0000, v216                       // 000000004538: 27B3B0FF FFFF0000
	v_lshlrev_b32_e32 v216, 16, v216                           // 000000004540: 25B1B090
	v_and_b32_e32 v223, 0xffff0000, v221                       // 000000004544: 27BFBAFF FFFF0000
	v_lshlrev_b32_e32 v222, 16, v221                           // 00000000454C: 25BDBA90
	v_and_b32_e32 v221, 0xffff0000, v220                       // 000000004550: 27BBB8FF FFFF0000
	v_lshlrev_b32_e32 v220, 16, v220                           // 000000004558: 25B9B890
	v_mul_f32_dpp v208, v15, v208 row_newbcast:0 row_mask:0xf bank_mask:0xf// 00000000455C: 0BA1A0FA FF01500F
	v_mul_f32_dpp v209, v15, v209 row_newbcast:1 row_mask:0xf bank_mask:0xf// 000000004564: 0BA3A2FA FF01510F
	v_mul_f32_dpp v210, v15, v210 row_newbcast:2 row_mask:0xf bank_mask:0xf// 00000000456C: 0BA5A4FA FF01520F
	v_mul_f32_dpp v211, v15, v211 row_newbcast:3 row_mask:0xf bank_mask:0xf// 000000004574: 0BA7A6FA FF01530F
	v_mul_f32_dpp v212, v15, v212 row_newbcast:0 row_mask:0xf bank_mask:0xf// 00000000457C: 0BA9A8FA FF01500F
	v_mul_f32_dpp v213, v15, v213 row_newbcast:1 row_mask:0xf bank_mask:0xf// 000000004584: 0BABAAFA FF01510F
	v_mul_f32_dpp v214, v15, v214 row_newbcast:2 row_mask:0xf bank_mask:0xf// 00000000458C: 0BADACFA FF01520F
	v_mul_f32_dpp v215, v15, v215 row_newbcast:3 row_mask:0xf bank_mask:0xf// 000000004594: 0BAFAEFA FF01530F
	v_mul_f32_dpp v216, v15, v216 row_newbcast:4 row_mask:0xf bank_mask:0xf// 00000000459C: 0BB1B0FA FF01540F
	v_mul_f32_dpp v217, v15, v217 row_newbcast:5 row_mask:0xf bank_mask:0xf// 0000000045A4: 0BB3B2FA FF01550F
	v_mul_f32_dpp v218, v15, v218 row_newbcast:6 row_mask:0xf bank_mask:0xf// 0000000045AC: 0BB5B4FA FF01560F
	v_mul_f32_dpp v219, v15, v219 row_newbcast:7 row_mask:0xf bank_mask:0xf// 0000000045B4: 0BB7B6FA FF01570F
	v_mul_f32_dpp v220, v15, v220 row_newbcast:4 row_mask:0xf bank_mask:0xf// 0000000045BC: 0BB9B8FA FF01540F
	v_mul_f32_dpp v221, v15, v221 row_newbcast:5 row_mask:0xf bank_mask:0xf// 0000000045C4: 0BBBBAFA FF01550F
	v_mul_f32_dpp v222, v15, v222 row_newbcast:6 row_mask:0xf bank_mask:0xf// 0000000045CC: 0BBDBCFA FF01560F
	v_mul_f32_dpp v223, v15, v223 row_newbcast:7 row_mask:0xf bank_mask:0xf// 0000000045D4: 0BBFBEFA FF01570F
	v_mfma_i32_16x16x32_i8 v[244:247], a[96:97], v[192:193], 0 // 0000000045DC: D3D700F4 0A038160
	v_mfma_i32_16x16x32_i8 v[244:247], a[98:99], v[194:195], v[244:247]// 0000000045E4: D3D700F4 0FD38562
	buffer_load_dwordx4 a[8:11], v36, s[24:27], 0 offen offset:2048// 0000000045EC: E05C1800 80860824
	v_mfma_i32_16x16x32_i8 v[244:247], a[100:101], v[196:197], v[244:247]// 0000000045F4: D3D700F4 0FD38964
	v_mfma_i32_16x16x32_i8 v[244:247], a[102:103], v[198:199], v[244:247]// 0000000045FC: D3D700F4 0FD38D66
	v_mfma_i32_16x16x32_i8 v[244:247], a[104:105], v[200:201], v[244:247]// 000000004604: D3D700F4 0FD39168
	v_mfma_i32_16x16x32_i8 v[244:247], a[106:107], v[202:203], v[244:247]// 00000000460C: D3D700F4 0FD3956A
	buffer_load_dwordx4 a[12:15], v36, s[24:27], 0 offen offset:3072// 000000004614: E05C1C00 80860C24
	v_mfma_i32_16x16x32_i8 v[244:247], a[108:109], v[204:205], v[244:247]// 00000000461C: D3D700F4 0FD3996C
	v_mfma_i32_16x16x32_i8 v[244:247], a[110:111], v[206:207], v[244:247]// 000000004624: D3D700F4 0FD39D6E
	s_waitcnt lgkmcnt(0)                                       // 00000000462C: BF8CC07F
	v_and_b32_e32 v227, 0xffff0000, v225                       // 000000004630: 27C7C2FF FFFF0000
	v_lshlrev_b32_e32 v226, 16, v225                           // 000000004638: 25C5C290
	v_and_b32_e32 v225, 0xffff0000, v224                       // 00000000463C: 27C3C0FF FFFF0000
	v_lshlrev_b32_e32 v224, 16, v224                           // 000000004644: 25C1C090
	v_and_b32_e32 v231, 0xffff0000, v229                       // 000000004648: 27CFCAFF FFFF0000
	v_lshlrev_b32_e32 v230, 16, v229                           // 000000004650: 25CDCA90
	v_and_b32_e32 v229, 0xffff0000, v228                       // 000000004654: 27CBC8FF FFFF0000
	v_lshlrev_b32_e32 v228, 16, v228                           // 00000000465C: 25C9C890
	v_and_b32_e32 v235, 0xffff0000, v233                       // 000000004660: 27D7D2FF FFFF0000
	v_lshlrev_b32_e32 v234, 16, v233                           // 000000004668: 25D5D290
	v_and_b32_e32 v233, 0xffff0000, v232                       // 00000000466C: 27D3D0FF FFFF0000
	v_lshlrev_b32_e32 v232, 16, v232                           // 000000004674: 25D1D090
	v_and_b32_e32 v239, 0xffff0000, v237                       // 000000004678: 27DFDAFF FFFF0000
	v_lshlrev_b32_e32 v238, 16, v237                           // 000000004680: 25DDDA90
	v_and_b32_e32 v237, 0xffff0000, v236                       // 000000004684: 27DBD8FF FFFF0000
	v_lshlrev_b32_e32 v236, 16, v236                           // 00000000468C: 25D9D890
	v_mul_f32_dpp v224, v15, v224 row_newbcast:8 row_mask:0xf bank_mask:0xf// 000000004690: 0BC1C0FA FF01580F
	v_mul_f32_dpp v225, v15, v225 row_newbcast:9 row_mask:0xf bank_mask:0xf// 000000004698: 0BC3C2FA FF01590F
	v_mul_f32_dpp v226, v15, v226 row_newbcast:10 row_mask:0xf bank_mask:0xf// 0000000046A0: 0BC5C4FA FF015A0F
	v_mul_f32_dpp v227, v15, v227 row_newbcast:11 row_mask:0xf bank_mask:0xf// 0000000046A8: 0BC7C6FA FF015B0F
	v_mul_f32_dpp v228, v15, v228 row_newbcast:8 row_mask:0xf bank_mask:0xf// 0000000046B0: 0BC9C8FA FF01580F
	v_mul_f32_dpp v229, v15, v229 row_newbcast:9 row_mask:0xf bank_mask:0xf// 0000000046B8: 0BCBCAFA FF01590F
	v_mul_f32_dpp v230, v15, v230 row_newbcast:10 row_mask:0xf bank_mask:0xf// 0000000046C0: 0BCDCCFA FF015A0F
	v_mul_f32_dpp v231, v15, v231 row_newbcast:11 row_mask:0xf bank_mask:0xf// 0000000046C8: 0BCFCEFA FF015B0F
	v_mul_f32_dpp v232, v15, v232 row_newbcast:12 row_mask:0xf bank_mask:0xf// 0000000046D0: 0BD1D0FA FF015C0F
	v_mul_f32_dpp v233, v15, v233 row_newbcast:13 row_mask:0xf bank_mask:0xf// 0000000046D8: 0BD3D2FA FF015D0F
	v_mul_f32_dpp v234, v15, v234 row_newbcast:14 row_mask:0xf bank_mask:0xf// 0000000046E0: 0BD5D4FA FF015E0F
	v_mul_f32_dpp v235, v15, v235 row_newbcast:15 row_mask:0xf bank_mask:0xf// 0000000046E8: 0BD7D6FA FF015F0F
	v_mul_f32_dpp v236, v15, v236 row_newbcast:12 row_mask:0xf bank_mask:0xf// 0000000046F0: 0BD9D8FA FF015C0F
	v_mul_f32_dpp v237, v15, v237 row_newbcast:13 row_mask:0xf bank_mask:0xf// 0000000046F8: 0BDBDAFA FF015D0F
	v_mul_f32_dpp v238, v15, v238 row_newbcast:14 row_mask:0xf bank_mask:0xf// 000000004700: 0BDDDCFA FF015E0F
	v_mul_f32_dpp v239, v15, v239 row_newbcast:15 row_mask:0xf bank_mask:0xf// 000000004708: 0BDFDEFA FF015F0F
	v_cvt_f32_i32_e32 v240, v240                               // 000000004710: 7FE00BF0
	v_cvt_f32_i32_e32 v241, v241                               // 000000004714: 7FE20BF1
	v_cvt_f32_i32_e32 v242, v242                               // 000000004718: 7FE40BF2
	v_cvt_f32_i32_e32 v243, v243                               // 00000000471C: 7FE60BF3
	v_pk_fma_f32 v[64:65], v[240:241], v[248:249], v[64:65]    // 000000004720: D3B04040 1D03F1F0
	v_pk_fma_f32 v[66:67], v[242:243], v[248:249], v[66:67]    // 000000004728: D3B04042 1D0BF1F2
	v_mfma_i32_16x16x32_i8 v[240:243], a[112:113], v[176:177], 0// 000000004730: D3D700F0 0A036170
	v_mfma_i32_16x16x32_i8 v[240:243], a[114:115], v[178:179], v[240:243]// 000000004738: D3D700F0 0FC36572
	buffer_load_dwordx4 a[16:19], v37, s[24:27], 0 offen       // 000000004740: E05C1000 80861025
	v_mov_b32_e32 v46, 0x358637bd                              // 000000004748: 7E5C02FF 358637BD
	v_mov_b32_e32 v47, 0x358637bd                              // 000000004750: 7E5E02FF 358637BD
	v_max3_f32 v46, |v208|, |v209|, v46                        // 000000004758: D1D3032E 04BBA3D0
	v_max3_f32 v46, |v210|, |v211|, v46                        // 000000004760: D1D3032E 04BBA7D2
	v_max3_f32 v47, |v212|, |v213|, v47                        // 000000004768: D1D3032F 04BFABD4
	v_max3_f32 v47, |v214|, |v215|, v47                        // 000000004770: D1D3032F 04BFAFD6
	v_max3_f32 v46, |v216|, |v217|, v46                        // 000000004778: D1D3032E 04BBB3D8
	v_max3_f32 v46, |v218|, |v219|, v46                        // 000000004780: D1D3032E 04BBB7DA
	v_max3_f32 v47, |v220|, |v221|, v47                        // 000000004788: D1D3032F 04BFBBDC
	v_max3_f32 v47, |v222|, |v223|, v47                        // 000000004790: D1D3032F 04BFBFDE
	v_max3_f32 v46, |v224|, |v225|, v46                        // 000000004798: D1D3032E 04BBC3E0
	v_max3_f32 v46, |v226|, |v227|, v46                        // 0000000047A0: D1D3032E 04BBC7E2
	v_max3_f32 v47, |v228|, |v229|, v47                        // 0000000047A8: D1D3032F 04BFCBE4
	v_max3_f32 v47, |v230|, |v231|, v47                        // 0000000047B0: D1D3032F 04BFCFE6
	v_max3_f32 v46, |v232|, |v233|, v46                        // 0000000047B8: D1D3032E 04BBD3E8
	v_max3_f32 v46, |v234|, |v235|, v46                        // 0000000047C0: D1D3032E 04BBD7EA
	v_max3_f32 v47, |v236|, |v237|, v47                        // 0000000047C8: D1D3032F 04BFDBEC
	v_max3_f32 v47, |v238|, |v239|, v47                        // 0000000047D0: D1D3032F 04BFDFEE
	v_mfma_i32_16x16x32_i8 v[240:243], a[116:117], v[180:181], v[240:243]// 0000000047D8: D3D700F0 0FC36974
	ds_write_b64 v3, v[46:47]                                  // 0000000047E0: D89A0000 00002E03
	v_mfma_i32_16x16x32_i8 v[240:243], a[118:119], v[182:183], v[240:243]// 0000000047E8: D3D700F0 0FC36D76
	v_mfma_i32_16x16x32_i8 v[240:243], a[120:121], v[184:185], v[240:243]// 0000000047F0: D3D700F0 0FC37178
	v_mfma_i32_16x16x32_i8 v[240:243], a[122:123], v[186:187], v[240:243]// 0000000047F8: D3D700F0 0FC3757A
	buffer_load_dwordx4 a[20:23], v37, s[24:27], 0 offen offset:1024// 000000004800: E05C1400 80861425
	s_waitcnt lgkmcnt(0)                                       // 000000004808: BF8CC07F
	s_barrier                                                  // 00000000480C: BF8A0000
	v_mfma_i32_16x16x32_i8 v[240:243], a[124:125], v[188:189], v[240:243]// 000000004810: D3D700F0 0FC3797C
	ds_read_b64 v[46:47], v4                                   // 000000004818: D8EC0000 2E000004
	ds_read_b64 v[48:49], v4 offset:128                        // 000000004820: D8EC0080 30000004
	v_mfma_i32_16x16x32_i8 v[240:243], a[126:127], v[190:191], v[240:243]// 000000004828: D3D700F0 0FC37D7E
	v_cvt_f32_i32_e32 v244, v244                               // 000000004830: 7FE80BF4
	v_cvt_f32_i32_e32 v245, v245                               // 000000004834: 7FEA0BF5
	v_cvt_f32_i32_e32 v246, v246                               // 000000004838: 7FEC0BF6
	v_cvt_f32_i32_e32 v247, v247                               // 00000000483C: 7FEE0BF7
	v_pk_fma_f32 v[68:69], v[244:245], v[250:251], v[68:69]    // 000000004840: D3B04044 1D13F5F4
	v_pk_fma_f32 v[70:71], v[246:247], v[250:251], v[70:71]    // 000000004848: D3B04046 1D1BF5F6
	v_mfma_i32_16x16x32_i8 v[244:247], a[112:113], v[192:193], 0// 000000004850: D3D700F4 0A038170
	ds_read_b64 v[50:51], v4 offset:256                        // 000000004858: D8EC0100 32000004
	ds_read_b64 v[52:53], v4 offset:384                        // 000000004860: D8EC0180 34000004
	v_mfma_i32_16x16x32_i8 v[244:247], a[114:115], v[194:195], v[244:247]// 000000004868: D3D700F4 0FD38572
	buffer_load_dwordx4 a[24:27], v37, s[24:27], 0 offen offset:2048// 000000004870: E05C1800 80861825
	v_mfma_i32_16x16x32_i8 v[244:247], a[116:117], v[196:197], v[244:247]// 000000004878: D3D700F4 0FD38974
	ds_read_b64 v[54:55], v4 offset:512                        // 000000004880: D8EC0200 36000004
	ds_read_b64 v[56:57], v4 offset:640                        // 000000004888: D8EC0280 38000004
	v_mfma_i32_16x16x32_i8 v[244:247], a[118:119], v[198:199], v[244:247]// 000000004890: D3D700F4 0FD38D76
	v_mfma_i32_16x16x32_i8 v[244:247], a[120:121], v[200:201], v[244:247]// 000000004898: D3D700F4 0FD39178
	ds_read_b64 v[58:59], v4 offset:768                        // 0000000048A0: D8EC0300 3A000004
	ds_read_b64 v[60:61], v4 offset:896                        // 0000000048A8: D8EC0380 3C000004
	v_mfma_i32_16x16x32_i8 v[244:247], a[122:123], v[202:203], v[244:247]// 0000000048B0: D3D700F4 0FD3957A
	buffer_load_dwordx4 a[28:31], v37, s[24:27], 0 offen offset:3072// 0000000048B8: E05C1C00 80861C25
	v_mfma_i32_16x16x32_i8 v[244:247], a[124:125], v[204:205], v[244:247]// 0000000048C0: D3D700F4 0FD3997C
	v_mfma_i32_16x16x32_i8 v[244:247], a[126:127], v[206:207], v[244:247]// 0000000048C8: D3D700F4 0FD39D7E
	v_cvt_f32_i32_e32 v240, v240                               // 0000000048D0: 7FE00BF0
	v_cvt_f32_i32_e32 v241, v241                               // 0000000048D4: 7FE20BF1
	v_cvt_f32_i32_e32 v242, v242                               // 0000000048D8: 7FE40BF2
	v_cvt_f32_i32_e32 v243, v243                               // 0000000048DC: 7FE60BF3
	v_pk_fma_f32 v[72:73], v[240:241], v[248:249], v[72:73]    // 0000000048E0: D3B04048 1D23F1F0
	v_pk_fma_f32 v[74:75], v[242:243], v[248:249], v[74:75]    // 0000000048E8: D3B0404A 1D2BF1F2
	s_waitcnt vmcnt(20)                                        // 0000000048F0: BF8C4F74
	v_mfma_i32_16x16x32_i8 v[240:243], a[128:129], v[176:177], 0// 0000000048F4: D3D700F0 0A036180
	v_mfma_i32_16x16x32_i8 v[240:243], a[130:131], v[178:179], v[240:243]// 0000000048FC: D3D700F0 0FC36582
	buffer_load_dwordx4 a[32:35], v38, s[24:27], 0 offen       // 000000004904: E05C1000 80862026
	s_waitcnt lgkmcnt(0)                                       // 00000000490C: BF8CC07F
	v_mov_b32_e32 v22, 0x358637bd                              // 000000004910: 7E2C02FF 358637BD
	v_mov_b32_e32 v23, 0x358637bd                              // 000000004918: 7E2E02FF 358637BD
	v_max3_f32 v22, |v46|, |v48|, v22                          // 000000004920: D1D30316 045A612E
	v_max3_f32 v23, |v47|, |v49|, v23                          // 000000004928: D1D30317 045E632F
	v_max3_f32 v22, |v50|, |v52|, v22                          // 000000004930: D1D30316 045A6932
	v_max3_f32 v23, |v51|, |v53|, v23                          // 000000004938: D1D30317 045E6B33
	v_max3_f32 v22, |v54|, |v56|, v22                          // 000000004940: D1D30316 045A7136
	v_max3_f32 v23, |v55|, |v57|, v23                          // 000000004948: D1D30317 045E7337
	v_max3_f32 v22, |v58|, |v60|, v22                          // 000000004950: D1D30316 045A793A
	v_max3_f32 v23, |v59|, |v61|, v23                          // 000000004958: D1D30317 045E7B3B
	v_mfma_i32_16x16x32_i8 v[240:243], a[132:133], v[180:181], v[240:243]// 000000004960: D3D700F0 0FC36984
	ds_read_b64 v[46:47], v4 offset:1024                       // 000000004968: D8EC0400 2E000004
	ds_read_b64 v[48:49], v4 offset:1152                       // 000000004970: D8EC0480 30000004
	v_mfma_i32_16x16x32_i8 v[240:243], a[134:135], v[182:183], v[240:243]// 000000004978: D3D700F0 0FC36D86
	v_mfma_i32_16x16x32_i8 v[240:243], a[136:137], v[184:185], v[240:243]// 000000004980: D3D700F0 0FC37188
	ds_read_b64 v[50:51], v4 offset:1280                       // 000000004988: D8EC0500 32000004
	ds_read_b64 v[52:53], v4 offset:1408                       // 000000004990: D8EC0580 34000004
	v_mfma_i32_16x16x32_i8 v[240:243], a[138:139], v[186:187], v[240:243]// 000000004998: D3D700F0 0FC3758A
	buffer_load_dwordx4 a[36:39], v38, s[24:27], 0 offen offset:1024// 0000000049A0: E05C1400 80862426
	v_mfma_i32_16x16x32_i8 v[240:243], a[140:141], v[188:189], v[240:243]// 0000000049A8: D3D700F0 0FC3798C
	ds_read_b64 v[54:55], v4 offset:1536                       // 0000000049B0: D8EC0600 36000004
	ds_read_b64 v[56:57], v4 offset:1664                       // 0000000049B8: D8EC0680 38000004
	v_mfma_i32_16x16x32_i8 v[240:243], a[142:143], v[190:191], v[240:243]// 0000000049C0: D3D700F0 0FC37D8E
	v_cvt_f32_i32_e32 v244, v244                               // 0000000049C8: 7FE80BF4
	v_cvt_f32_i32_e32 v245, v245                               // 0000000049CC: 7FEA0BF5
	v_cvt_f32_i32_e32 v246, v246                               // 0000000049D0: 7FEC0BF6
	v_cvt_f32_i32_e32 v247, v247                               // 0000000049D4: 7FEE0BF7
	v_pk_fma_f32 v[76:77], v[244:245], v[250:251], v[76:77]    // 0000000049D8: D3B0404C 1D33F5F4
	v_pk_fma_f32 v[78:79], v[246:247], v[250:251], v[78:79]    // 0000000049E0: D3B0404E 1D3BF5F6
	v_mfma_i32_16x16x32_i8 v[244:247], a[128:129], v[192:193], 0// 0000000049E8: D3D700F4 0A038180
	ds_read_b64 v[58:59], v4 offset:1792                       // 0000000049F0: D8EC0700 3A000004
	ds_read_b64 v[60:61], v4 offset:1920                       // 0000000049F8: D8EC0780 3C000004
	v_mfma_i32_16x16x32_i8 v[244:247], a[130:131], v[194:195], v[244:247]// 000000004A00: D3D700F4 0FD38582
	buffer_load_dwordx4 a[40:43], v38, s[24:27], 0 offen offset:2048// 000000004A08: E05C1800 80862826
	v_mfma_i32_16x16x32_i8 v[244:247], a[132:133], v[196:197], v[244:247]// 000000004A10: D3D700F4 0FD38984
	v_mfma_i32_16x16x32_i8 v[244:247], a[134:135], v[198:199], v[244:247]// 000000004A18: D3D700F4 0FD38D86
	v_mfma_i32_16x16x32_i8 v[244:247], a[136:137], v[200:201], v[244:247]// 000000004A20: D3D700F4 0FD39188
	v_mfma_i32_16x16x32_i8 v[244:247], a[138:139], v[202:203], v[244:247]// 000000004A28: D3D700F4 0FD3958A
	buffer_load_dwordx4 a[44:47], v38, s[24:27], 0 offen offset:3072// 000000004A30: E05C1C00 80862C26
	s_waitcnt lgkmcnt(0)                                       // 000000004A38: BF8CC07F
	v_max3_f32 v22, |v46|, |v48|, v22                          // 000000004A3C: D1D30316 045A612E
	v_max3_f32 v23, |v47|, |v49|, v23                          // 000000004A44: D1D30317 045E632F
	v_max3_f32 v22, |v50|, |v52|, v22                          // 000000004A4C: D1D30316 045A6932
	v_max3_f32 v23, |v51|, |v53|, v23                          // 000000004A54: D1D30317 045E6B33
	v_max3_f32 v22, |v54|, |v56|, v22                          // 000000004A5C: D1D30316 045A7136
	v_max3_f32 v23, |v55|, |v57|, v23                          // 000000004A64: D1D30317 045E7337
	v_max3_f32 v22, |v58|, |v60|, v22                          // 000000004A6C: D1D30316 045A793A
	v_max3_f32 v23, |v59|, |v61|, v23                          // 000000004A74: D1D30317 045E7B3B
	v_mov_b32_e32 v42, 0x42fe0000                              // 000000004A7C: 7E5402FF 42FE0000
	v_rcp_f32_e32 v22, v22                                     // 000000004A84: 7E2C4516
	v_rcp_f32_e32 v23, v23                                     // 000000004A88: 7E2E4517
	s_nop 1                                                    // 000000004A8C: BF800001
	v_mul_f32_e32 v22, v42, v22                                // 000000004A90: 0A2C2D2A
	v_mul_f32_e32 v23, v42, v23                                // 000000004A94: 0A2E2F2A
	v_rcp_f32_e32 v26, v22                                     // 000000004A98: 7E344516
	v_rcp_f32_e32 v27, v23                                     // 000000004A9C: 7E364517
	v_mov_b32_e32 v42, v22                                     // 000000004AA0: 7E540316
	v_mov_b32_e32 v43, v22                                     // 000000004AA4: 7E560316
	v_mov_b32_e32 v44, v23                                     // 000000004AA8: 7E580317
	v_mov_b32_e32 v45, v23                                     // 000000004AAC: 7E5A0317
	v_pk_mul_f32 v[208:209], v[42:43], v[208:209]              // 000000004AB0: D3B140D0 1803A12A
	v_pk_mul_f32 v[210:211], v[42:43], v[210:211]              // 000000004AB8: D3B140D2 1803A52A
	v_cvt_i32_f32_e32 v208, v208                               // 000000004AC0: 7FA011D0
	v_cvt_i32_f32_e32 v209, v209                               // 000000004AC4: 7FA211D1
	v_cvt_i32_f32_e32 v210, v210                               // 000000004AC8: 7FA411D2
	v_cvt_i32_f32_e32 v211, v211                               // 000000004ACC: 7FA611D3
	v_perm_b32 v208, v209, v208, s53                           // 000000004AD0: D1ED00D0 00D7A1D1
	v_perm_b32 v208, v210, v208, s54                           // 000000004AD8: D1ED00D0 00DBA1D2
	v_perm_b32 v208, v211, v208, s55                           // 000000004AE0: D1ED00D0 00DFA1D3
	v_pk_mul_f32 v[212:213], v[44:45], v[212:213]              // 000000004AE8: D3B140D4 1803A92C
	v_pk_mul_f32 v[214:215], v[44:45], v[214:215]              // 000000004AF0: D3B140D6 1803AD2C
	v_cvt_i32_f32_e32 v212, v212                               // 000000004AF8: 7FA811D4
	v_cvt_i32_f32_e32 v213, v213                               // 000000004AFC: 7FAA11D5
	v_cvt_i32_f32_e32 v214, v214                               // 000000004B00: 7FAC11D6
	v_cvt_i32_f32_e32 v215, v215                               // 000000004B04: 7FAE11D7
	v_perm_b32 v209, v213, v212, s53                           // 000000004B08: D1ED00D1 00D7A9D5
	v_perm_b32 v209, v214, v209, s54                           // 000000004B10: D1ED00D1 00DBA3D6
	v_perm_b32 v209, v215, v209, s55                           // 000000004B18: D1ED00D1 00DFA3D7
	v_pk_mul_f32 v[216:217], v[42:43], v[216:217]              // 000000004B20: D3B140D8 1803B12A
	v_pk_mul_f32 v[218:219], v[42:43], v[218:219]              // 000000004B28: D3B140DA 1803B52A
	v_cvt_i32_f32_e32 v216, v216                               // 000000004B30: 7FB011D8
	v_cvt_i32_f32_e32 v217, v217                               // 000000004B34: 7FB211D9
	v_cvt_i32_f32_e32 v218, v218                               // 000000004B38: 7FB411DA
	v_cvt_i32_f32_e32 v219, v219                               // 000000004B3C: 7FB611DB
	v_perm_b32 v210, v217, v216, s53                           // 000000004B40: D1ED00D2 00D7B1D9
	v_perm_b32 v210, v218, v210, s54                           // 000000004B48: D1ED00D2 00DBA5DA
	v_perm_b32 v210, v219, v210, s55                           // 000000004B50: D1ED00D2 00DFA5DB
	v_pk_mul_f32 v[220:221], v[44:45], v[220:221]              // 000000004B58: D3B140DC 1803B92C
	v_pk_mul_f32 v[222:223], v[44:45], v[222:223]              // 000000004B60: D3B140DE 1803BD2C
	v_cvt_i32_f32_e32 v220, v220                               // 000000004B68: 7FB811DC
	v_cvt_i32_f32_e32 v221, v221                               // 000000004B6C: 7FBA11DD
	v_cvt_i32_f32_e32 v222, v222                               // 000000004B70: 7FBC11DE
	v_cvt_i32_f32_e32 v223, v223                               // 000000004B74: 7FBE11DF
	v_perm_b32 v211, v221, v220, s53                           // 000000004B78: D1ED00D3 00D7B9DD
	v_perm_b32 v211, v222, v211, s54                           // 000000004B80: D1ED00D3 00DBA7DE
	v_perm_b32 v211, v223, v211, s55                           // 000000004B88: D1ED00D3 00DFA7DF
	v_pk_mul_f32 v[224:225], v[42:43], v[224:225]              // 000000004B90: D3B140E0 1803C12A
	v_pk_mul_f32 v[226:227], v[42:43], v[226:227]              // 000000004B98: D3B140E2 1803C52A
	v_cvt_i32_f32_e32 v224, v224                               // 000000004BA0: 7FC011E0
	v_cvt_i32_f32_e32 v225, v225                               // 000000004BA4: 7FC211E1
	v_cvt_i32_f32_e32 v226, v226                               // 000000004BA8: 7FC411E2
	v_cvt_i32_f32_e32 v227, v227                               // 000000004BAC: 7FC611E3
	v_perm_b32 v212, v225, v224, s53                           // 000000004BB0: D1ED00D4 00D7C1E1
	v_perm_b32 v212, v226, v212, s54                           // 000000004BB8: D1ED00D4 00DBA9E2
	v_perm_b32 v212, v227, v212, s55                           // 000000004BC0: D1ED00D4 00DFA9E3
	v_pk_mul_f32 v[228:229], v[44:45], v[228:229]              // 000000004BC8: D3B140E4 1803C92C
	v_pk_mul_f32 v[230:231], v[44:45], v[230:231]              // 000000004BD0: D3B140E6 1803CD2C
	v_cvt_i32_f32_e32 v228, v228                               // 000000004BD8: 7FC811E4
	v_cvt_i32_f32_e32 v229, v229                               // 000000004BDC: 7FCA11E5
	v_cvt_i32_f32_e32 v230, v230                               // 000000004BE0: 7FCC11E6
	v_cvt_i32_f32_e32 v231, v231                               // 000000004BE4: 7FCE11E7
	v_perm_b32 v213, v229, v228, s53                           // 000000004BE8: D1ED00D5 00D7C9E5
	v_perm_b32 v213, v230, v213, s54                           // 000000004BF0: D1ED00D5 00DBABE6
	v_perm_b32 v213, v231, v213, s55                           // 000000004BF8: D1ED00D5 00DFABE7
	v_pk_mul_f32 v[232:233], v[42:43], v[232:233]              // 000000004C00: D3B140E8 1803D12A
	v_pk_mul_f32 v[234:235], v[42:43], v[234:235]              // 000000004C08: D3B140EA 1803D52A
	v_cvt_i32_f32_e32 v232, v232                               // 000000004C10: 7FD011E8
	v_cvt_i32_f32_e32 v233, v233                               // 000000004C14: 7FD211E9
	v_cvt_i32_f32_e32 v234, v234                               // 000000004C18: 7FD411EA
	v_cvt_i32_f32_e32 v235, v235                               // 000000004C1C: 7FD611EB
	v_perm_b32 v214, v233, v232, s53                           // 000000004C20: D1ED00D6 00D7D1E9
	v_perm_b32 v214, v234, v214, s54                           // 000000004C28: D1ED00D6 00DBADEA
	v_perm_b32 v214, v235, v214, s55                           // 000000004C30: D1ED00D6 00DFADEB
	v_pk_mul_f32 v[236:237], v[44:45], v[236:237]              // 000000004C38: D3B140EC 1803D92C
	v_pk_mul_f32 v[238:239], v[44:45], v[238:239]              // 000000004C40: D3B140EE 1803DD2C
	v_cvt_i32_f32_e32 v236, v236                               // 000000004C48: 7FD811EC
	v_cvt_i32_f32_e32 v237, v237                               // 000000004C4C: 7FDA11ED
	v_cvt_i32_f32_e32 v238, v238                               // 000000004C50: 7FDC11EE
	v_cvt_i32_f32_e32 v239, v239                               // 000000004C54: 7FDE11EF
	v_perm_b32 v215, v237, v236, s53                           // 000000004C58: D1ED00D7 00D7D9ED
	v_perm_b32 v215, v238, v215, s54                           // 000000004C60: D1ED00D7 00DBAFEE
	v_perm_b32 v215, v239, v215, s55                           // 000000004C68: D1ED00D7 00DFAFEF
	v_mfma_i32_16x16x32_i8 v[244:247], a[140:141], v[204:205], v[244:247]// 000000004C70: D3D700F4 0FD3998C
	ds_write_b32 v12, v208 offset:2048                         // 000000004C78: D81A0800 0000D00C
	ds_write_b32 v12, v209 offset:6144                         // 000000004C80: D81A1800 0000D10C
	v_mfma_i32_16x16x32_i8 v[244:247], a[142:143], v[206:207], v[244:247]// 000000004C88: D3D700F4 0FD39D8E
	v_cvt_f32_i32_e32 v240, v240                               // 000000004C90: 7FE00BF0
	v_cvt_f32_i32_e32 v241, v241                               // 000000004C94: 7FE20BF1
	v_cvt_f32_i32_e32 v242, v242                               // 000000004C98: 7FE40BF2
	v_cvt_f32_i32_e32 v243, v243                               // 000000004C9C: 7FE60BF3
	v_pk_fma_f32 v[80:81], v[240:241], v[248:249], v[80:81]    // 000000004CA0: D3B04050 1D43F1F0
	v_pk_fma_f32 v[82:83], v[242:243], v[248:249], v[82:83]    // 000000004CA8: D3B04052 1D4BF1F2
	s_waitcnt vmcnt(20)                                        // 000000004CB0: BF8C4F74
	v_mfma_i32_16x16x32_i8 v[240:243], a[144:145], v[176:177], 0// 000000004CB4: D3D700F0 0A036190
	ds_write_b32 v12, v210 offset:3072                         // 000000004CBC: D81A0C00 0000D20C
	ds_write_b32 v12, v211 offset:7168                         // 000000004CC4: D81A1C00 0000D30C
	v_mfma_i32_16x16x32_i8 v[240:243], a[146:147], v[178:179], v[240:243]// 000000004CCC: D3D700F0 0FC36592
	buffer_load_dwordx4 a[48:51], v39, s[24:27], 0 offen       // 000000004CD4: E05C1000 80863027
	v_mfma_i32_16x16x32_i8 v[240:243], a[148:149], v[180:181], v[240:243]// 000000004CDC: D3D700F0 0FC36994
	ds_write_b32 v12, v212 offset:4096                         // 000000004CE4: D81A1000 0000D40C
	ds_write_b32 v12, v213 offset:8192                         // 000000004CEC: D81A2000 0000D50C
	v_mfma_i32_16x16x32_i8 v[240:243], a[150:151], v[182:183], v[240:243]// 000000004CF4: D3D700F0 0FC36D96
	v_mfma_i32_16x16x32_i8 v[240:243], a[152:153], v[184:185], v[240:243]// 000000004CFC: D3D700F0 0FC37198
	ds_write_b32 v12, v214 offset:5120                         // 000000004D04: D81A1400 0000D60C
	ds_write_b32 v12, v215 offset:9216                         // 000000004D0C: D81A2400 0000D70C
	v_mfma_i32_16x16x32_i8 v[240:243], a[154:155], v[186:187], v[240:243]// 000000004D14: D3D700F0 0FC3759A
	buffer_load_dwordx4 a[52:55], v39, s[24:27], 0 offen offset:1024// 000000004D1C: E05C1400 80863427
	v_mfma_i32_16x16x32_i8 v[240:243], a[156:157], v[188:189], v[240:243]// 000000004D24: D3D700F0 0FC3799C
	v_mfma_i32_16x16x32_i8 v[240:243], a[158:159], v[190:191], v[240:243]// 000000004D2C: D3D700F0 0FC37D9E
	v_cvt_f32_i32_e32 v244, v244                               // 000000004D34: 7FE80BF4
	v_cvt_f32_i32_e32 v245, v245                               // 000000004D38: 7FEA0BF5
	v_cvt_f32_i32_e32 v246, v246                               // 000000004D3C: 7FEC0BF6
	v_cvt_f32_i32_e32 v247, v247                               // 000000004D40: 7FEE0BF7
	v_pk_fma_f32 v[84:85], v[244:245], v[250:251], v[84:85]    // 000000004D44: D3B04054 1D53F5F4
	v_pk_fma_f32 v[86:87], v[246:247], v[250:251], v[86:87]    // 000000004D4C: D3B04056 1D5BF5F6
	v_mfma_i32_16x16x32_i8 v[244:247], a[144:145], v[192:193], 0// 000000004D54: D3D700F4 0A038190
	v_mfma_i32_16x16x32_i8 v[244:247], a[146:147], v[194:195], v[244:247]// 000000004D5C: D3D700F4 0FD38592
	buffer_load_dwordx4 a[56:59], v39, s[24:27], 0 offen offset:2048// 000000004D64: E05C1800 80863827
	v_mfma_i32_16x16x32_i8 v[244:247], a[148:149], v[196:197], v[244:247]// 000000004D6C: D3D700F4 0FD38994
	v_mfma_i32_16x16x32_i8 v[244:247], a[150:151], v[198:199], v[244:247]// 000000004D74: D3D700F4 0FD38D96
	s_waitcnt lgkmcnt(0)                                       // 000000004D7C: BF8CC07F
	s_barrier                                                  // 000000004D80: BF8A0000
	v_mfma_i32_16x16x32_i8 v[244:247], a[152:153], v[200:201], v[244:247]// 000000004D84: D3D700F4 0FD39198
	ds_read_b64 v[208:209], v13 offset:2048                    // 000000004D8C: D8EC0800 D000000D
	ds_read_b64 v[210:211], v13 offset:2176                    // 000000004D94: D8EC0880 D200000D
	v_mfma_i32_16x16x32_i8 v[244:247], a[154:155], v[202:203], v[244:247]// 000000004D9C: D3D700F4 0FD3959A
	buffer_load_dwordx4 a[60:63], v39, s[24:27], 0 offen offset:3072// 000000004DA4: E05C1C00 80863C27
	v_mfma_i32_16x16x32_i8 v[244:247], a[156:157], v[204:205], v[244:247]// 000000004DAC: D3D700F4 0FD3999C
	ds_read_b64 v[212:213], v13 offset:3072                    // 000000004DB4: D8EC0C00 D400000D
	ds_read_b64 v[214:215], v13 offset:3200                    // 000000004DBC: D8EC0C80 D600000D
	v_mfma_i32_16x16x32_i8 v[244:247], a[158:159], v[206:207], v[244:247]// 000000004DC4: D3D700F4 0FD39D9E
	v_cvt_f32_i32_e32 v240, v240                               // 000000004DCC: 7FE00BF0
	v_cvt_f32_i32_e32 v241, v241                               // 000000004DD0: 7FE20BF1
	v_cvt_f32_i32_e32 v242, v242                               // 000000004DD4: 7FE40BF2
	v_cvt_f32_i32_e32 v243, v243                               // 000000004DD8: 7FE60BF3
	v_pk_fma_f32 v[88:89], v[240:241], v[248:249], v[88:89]    // 000000004DDC: D3B04058 1D63F1F0
	v_pk_fma_f32 v[90:91], v[242:243], v[248:249], v[90:91]    // 000000004DE4: D3B0405A 1D6BF1F2
	s_waitcnt vmcnt(20)                                        // 000000004DEC: BF8C4F74
	v_mfma_i32_16x16x32_i8 v[240:243], a[160:161], v[176:177], 0// 000000004DF0: D3D700F0 0A0361A0
	ds_read_b64 v[216:217], v13 offset:4096                    // 000000004DF8: D8EC1000 D800000D
	ds_read_b64 v[218:219], v13 offset:4224                    // 000000004E00: D8EC1080 DA00000D
	v_mfma_i32_16x16x32_i8 v[240:243], a[162:163], v[178:179], v[240:243]// 000000004E08: D3D700F0 0FC365A2
	buffer_load_dwordx4 a[64:67], v40, s[24:27], 0 offen       // 000000004E10: E05C1000 80864028
	v_mfma_i32_16x16x32_i8 v[240:243], a[164:165], v[180:181], v[240:243]// 000000004E18: D3D700F0 0FC369A4
	ds_read_b64 v[220:221], v13 offset:5120                    // 000000004E20: D8EC1400 DC00000D
	ds_read_b64 v[222:223], v13 offset:5248                    // 000000004E28: D8EC1480 DE00000D
	v_mfma_i32_16x16x32_i8 v[240:243], a[166:167], v[182:183], v[240:243]// 000000004E30: D3D700F0 0FC36DA6
	v_mfma_i32_16x16x32_i8 v[240:243], a[168:169], v[184:185], v[240:243]// 000000004E38: D3D700F0 0FC371A8
	ds_read_b64 v[224:225], v13 offset:6144                    // 000000004E40: D8EC1800 E000000D
	ds_read_b64 v[226:227], v13 offset:6272                    // 000000004E48: D8EC1880 E200000D
	v_mfma_i32_16x16x32_i8 v[240:243], a[170:171], v[186:187], v[240:243]// 000000004E50: D3D700F0 0FC375AA
	buffer_load_dwordx4 a[68:71], v40, s[24:27], 0 offen offset:1024// 000000004E58: E05C1400 80864428
	v_mfma_i32_16x16x32_i8 v[240:243], a[172:173], v[188:189], v[240:243]// 000000004E60: D3D700F0 0FC379AC
	ds_read_b64 v[228:229], v13 offset:7168                    // 000000004E68: D8EC1C00 E400000D
	ds_read_b64 v[230:231], v13 offset:7296                    // 000000004E70: D8EC1C80 E600000D
	v_mfma_i32_16x16x32_i8 v[240:243], a[174:175], v[190:191], v[240:243]// 000000004E78: D3D700F0 0FC37DAE
	v_cvt_f32_i32_e32 v244, v244                               // 000000004E80: 7FE80BF4
	v_cvt_f32_i32_e32 v245, v245                               // 000000004E84: 7FEA0BF5
	v_cvt_f32_i32_e32 v246, v246                               // 000000004E88: 7FEC0BF6
	v_cvt_f32_i32_e32 v247, v247                               // 000000004E8C: 7FEE0BF7
	v_pk_fma_f32 v[92:93], v[244:245], v[250:251], v[92:93]    // 000000004E90: D3B0405C 1D73F5F4
	v_pk_fma_f32 v[94:95], v[246:247], v[250:251], v[94:95]    // 000000004E98: D3B0405E 1D7BF5F6
	v_mfma_i32_16x16x32_i8 v[244:247], a[160:161], v[192:193], 0// 000000004EA0: D3D700F4 0A0381A0
	ds_read_b64 v[232:233], v13 offset:8192                    // 000000004EA8: D8EC2000 E800000D
	ds_read_b64 v[234:235], v13 offset:8320                    // 000000004EB0: D8EC2080 EA00000D
	v_mfma_i32_16x16x32_i8 v[244:247], a[162:163], v[194:195], v[244:247]// 000000004EB8: D3D700F4 0FD385A2
	buffer_load_dwordx4 a[72:75], v40, s[24:27], 0 offen offset:2048// 000000004EC0: E05C1800 80864828
	v_mfma_i32_16x16x32_i8 v[244:247], a[164:165], v[196:197], v[244:247]// 000000004EC8: D3D700F4 0FD389A4
	ds_read_b64 v[236:237], v13 offset:9216                    // 000000004ED0: D8EC2400 EC00000D
	ds_read_b64 v[238:239], v13 offset:9344                    // 000000004ED8: D8EC2480 EE00000D
	v_mfma_i32_16x16x32_i8 v[244:247], a[166:167], v[198:199], v[244:247]// 000000004EE0: D3D700F4 0FD38DA6
	v_mfma_i32_16x16x32_i8 v[244:247], a[168:169], v[200:201], v[244:247]// 000000004EE8: D3D700F4 0FD391A8
	v_mfma_i32_16x16x32_i8 v[244:247], a[170:171], v[202:203], v[244:247]// 000000004EF0: D3D700F4 0FD395AA
	buffer_load_dwordx4 a[76:79], v40, s[24:27], 0 offen offset:3072// 000000004EF8: E05C1C00 80864C28
	v_mfma_i32_16x16x32_i8 v[244:247], a[172:173], v[204:205], v[244:247]// 000000004F00: D3D700F4 0FD399AC
	v_mfma_i32_16x16x32_i8 v[244:247], a[174:175], v[206:207], v[244:247]// 000000004F08: D3D700F4 0FD39DAE
	v_cvt_f32_i32_e32 v240, v240                               // 000000004F10: 7FE00BF0
	v_cvt_f32_i32_e32 v241, v241                               // 000000004F14: 7FE20BF1
	v_cvt_f32_i32_e32 v242, v242                               // 000000004F18: 7FE40BF2
	v_cvt_f32_i32_e32 v243, v243                               // 000000004F1C: 7FE60BF3
	v_pk_fma_f32 v[96:97], v[240:241], v[248:249], v[96:97]    // 000000004F20: D3B04060 1D83F1F0
	v_pk_fma_f32 v[98:99], v[242:243], v[248:249], v[98:99]    // 000000004F28: D3B04062 1D8BF1F2
	s_waitcnt vmcnt(20)                                        // 000000004F30: BF8C4F74
	v_mfma_i32_16x16x32_i8 v[240:243], a[176:177], v[176:177], 0// 000000004F34: D3D700F0 0A0361B0
	v_mfma_i32_16x16x32_i8 v[240:243], a[178:179], v[178:179], v[240:243]// 000000004F3C: D3D700F0 0FC365B2
	buffer_load_dwordx4 a[80:83], v41, s[24:27], 0 offen       // 000000004F44: E05C1000 80865029
	v_mfma_i32_16x16x32_i8 v[240:243], a[180:181], v[180:181], v[240:243]// 000000004F4C: D3D700F0 0FC369B4
	v_mfma_i32_16x16x32_i8 v[240:243], a[182:183], v[182:183], v[240:243]// 000000004F54: D3D700F0 0FC36DB6
	v_mfma_i32_16x16x32_i8 v[240:243], a[184:185], v[184:185], v[240:243]// 000000004F5C: D3D700F0 0FC371B8
	v_mfma_i32_16x16x32_i8 v[240:243], a[186:187], v[186:187], v[240:243]// 000000004F64: D3D700F0 0FC375BA
	buffer_load_dwordx4 a[84:87], v41, s[24:27], 0 offen offset:1024// 000000004F6C: E05C1400 80865429
	v_mfma_i32_16x16x32_i8 v[240:243], a[188:189], v[188:189], v[240:243]// 000000004F74: D3D700F0 0FC379BC
	v_mfma_i32_16x16x32_i8 v[240:243], a[190:191], v[190:191], v[240:243]// 000000004F7C: D3D700F0 0FC37DBE
	v_cvt_f32_i32_e32 v244, v244                               // 000000004F84: 7FE80BF4
	v_cvt_f32_i32_e32 v245, v245                               // 000000004F88: 7FEA0BF5
	v_cvt_f32_i32_e32 v246, v246                               // 000000004F8C: 7FEC0BF6
	v_cvt_f32_i32_e32 v247, v247                               // 000000004F90: 7FEE0BF7
	v_pk_fma_f32 v[100:101], v[244:245], v[250:251], v[100:101]// 000000004F94: D3B04064 1D93F5F4
	v_pk_fma_f32 v[102:103], v[246:247], v[250:251], v[102:103]// 000000004F9C: D3B04066 1D9BF5F6
	v_mfma_i32_16x16x32_i8 v[244:247], a[176:177], v[192:193], 0// 000000004FA4: D3D700F4 0A0381B0
	v_mfma_i32_16x16x32_i8 v[244:247], a[178:179], v[194:195], v[244:247]// 000000004FAC: D3D700F4 0FD385B2
	buffer_load_dwordx4 a[88:91], v41, s[24:27], 0 offen offset:2048// 000000004FB4: E05C1800 80865829
	v_mfma_i32_16x16x32_i8 v[244:247], a[180:181], v[196:197], v[244:247]// 000000004FBC: D3D700F4 0FD389B4
	v_mfma_i32_16x16x32_i8 v[244:247], a[182:183], v[198:199], v[244:247]// 000000004FC4: D3D700F4 0FD38DB6
	v_mfma_i32_16x16x32_i8 v[244:247], a[184:185], v[200:201], v[244:247]// 000000004FCC: D3D700F4 0FD391B8
	v_mfma_i32_16x16x32_i8 v[244:247], a[186:187], v[202:203], v[244:247]// 000000004FD4: D3D700F4 0FD395BA
	buffer_load_dwordx4 a[92:95], v41, s[24:27], 0 offen offset:3072// 000000004FDC: E05C1C00 80865C29
	v_mfma_i32_16x16x32_i8 v[244:247], a[188:189], v[204:205], v[244:247]// 000000004FE4: D3D700F4 0FD399BC
	v_mfma_i32_16x16x32_i8 v[244:247], a[190:191], v[206:207], v[244:247]// 000000004FEC: D3D700F4 0FD39DBE
	v_cvt_f32_i32_e32 v240, v240                               // 000000004FF4: 7FE00BF0
	v_cvt_f32_i32_e32 v241, v241                               // 000000004FF8: 7FE20BF1
	v_cvt_f32_i32_e32 v242, v242                               // 000000004FFC: 7FE40BF2
	v_cvt_f32_i32_e32 v243, v243                               // 000000005000: 7FE60BF3
	v_pk_fma_f32 v[104:105], v[240:241], v[248:249], v[104:105]// 000000005004: D3B04068 1DA3F1F0
	v_pk_fma_f32 v[106:107], v[242:243], v[248:249], v[106:107]// 00000000500C: D3B0406A 1DABF1F2
	v_cvt_f32_i32_e32 v244, v244                               // 000000005014: 7FE80BF4
	v_cvt_f32_i32_e32 v245, v245                               // 000000005018: 7FEA0BF5
	v_cvt_f32_i32_e32 v246, v246                               // 00000000501C: 7FEC0BF6
	v_cvt_f32_i32_e32 v247, v247                               // 000000005020: 7FEE0BF7
	v_pk_fma_f32 v[108:109], v[244:245], v[250:251], v[108:109]// 000000005024: D3B0406C 1DB3F5F4
	v_pk_fma_f32 v[110:111], v[246:247], v[250:251], v[110:111]// 00000000502C: D3B0406E 1DBBF5F6
	s_add_u32 s60, 0x200, s80                                  // 000000005034: 803C50FF 00000200
	s_cmp_lt_u32 s60, s81                                      // 00000000503C: BF0A513C
	s_cselect_b32 s57, s57, 0                                  // 000000005040: 85398039
	s_cselect_b32 s91, s91, 0                                  // 000000005044: 855B805B
	s_add_u32 s60, 0x200, s80                                  // 000000005048: 803C50FF 00000200
	s_cmp_lt_u32 s60, s81                                      // 000000005050: BF0A513C
	s_cselect_b32 s58, s58, 0                                  // 000000005054: 853A803A
	s_add_u32 s20, s57, s20                                    // 000000005058: 80141439
	s_addc_u32 s21, 0, s21                                     // 00000000505C: 82151580
	s_add_u32 s28, s91, s28                                    // 000000005060: 801C1C5B
	s_addc_u32 s29, 0, s29                                     // 000000005064: 821D1D80
	s_add_u32 s24, s58, s24                                    // 000000005068: 8018183A
	s_addc_u32 s25, 0, s25                                     // 00000000506C: 82191980
	s_add_u32 s92, s90, s92                                    // 000000005070: 805C5C5A
	s_addc_u32 s93, 0, s93                                     // 000000005074: 825D5D80
	s_addk_i32 s80, 0x100                                      // 000000005078: B7500100
	s_cmp_lt_i32 s80, s81                                      // 00000000507C: BF045150
	s_cbranch_scc0 label_0D36                                  // 000000005080: BF840495
	v_mov_b32_e32 v248, v26                                    // 000000005084: 7FF0031A
	v_mov_b32_e32 v250, v27                                    // 000000005088: 7FF4031B
	v_mov_b32_e32 v249, v248                                   // 00000000508C: 7FF203F8
	v_mov_b32_e32 v251, v250                                   // 000000005090: 7FF603FA
	s_waitcnt vmcnt(16) lgkmcnt(0)                             // 000000005094: BF8C4070
	s_barrier                                                  // 000000005098: BF8A0000
	v_mfma_i32_16x16x32_i8 v[240:243], a[0:1], v[208:209], 0   // 00000000509C: D3D700F0 0A03A100
	v_mfma_i32_16x16x32_i8 v[240:243], a[2:3], v[210:211], v[240:243]// 0000000050A4: D3D700F0 0FC3A502
	buffer_load_dwordx4 a[96:99], v36, s[92:95], 0 offen       // 0000000050AC: E05C1000 80976024
	v_mfma_i32_16x16x32_i8 v[240:243], a[4:5], v[212:213], v[240:243]// 0000000050B4: D3D700F0 0FC3A904
	v_mfma_i32_16x16x32_i8 v[240:243], a[6:7], v[214:215], v[240:243]// 0000000050BC: D3D700F0 0FC3AD06
	buffer_load_dword v28, s[20:23], 0 offen lds               // 0000000050C4: E0511000 8005001C
	buffer_load_dword v28, s[20:23], 0 offen offset:256 lds    // 0000000050CC: E0511100 8005001C
	s_add_u32 m0, 0x820, s50                                   // 0000000050D4: 807C32FF 00000820
	v_mfma_i32_16x16x32_i8 v[240:243], a[8:9], v[216:217], v[240:243]// 0000000050DC: D3D700F0 0FC3B108
	v_mfma_i32_16x16x32_i8 v[240:243], a[10:11], v[218:219], v[240:243]// 0000000050E4: D3D700F0 0FC3B50A
	buffer_load_dwordx4 a[100:103], v36, s[92:95], 0 offen offset:1024// 0000000050EC: E05C1400 80976424
	v_mfma_i32_16x16x32_i8 v[240:243], a[12:13], v[220:221], v[240:243]// 0000000050F4: D3D700F0 0FC3B90C
	v_mfma_i32_16x16x32_i8 v[240:243], a[14:15], v[222:223], v[240:243]// 0000000050FC: D3D700F0 0FC3BD0E
	buffer_load_dword v29, s[20:23], 0 offen lds               // 000000005104: E0511000 8005001D
	buffer_load_dword v29, s[20:23], 0 offen offset:256 lds    // 00000000510C: E0511100 8005001D
	s_add_u32 m0, 0x1040, s50                                  // 000000005114: 807C32FF 00001040
	v_mfma_i32_16x16x32_i8 v[244:247], a[0:1], v[224:225], 0   // 00000000511C: D3D700F4 0A03C100
	v_mfma_i32_16x16x32_i8 v[244:247], a[2:3], v[226:227], v[244:247]// 000000005124: D3D700F4 0FD3C502
	buffer_load_dwordx4 a[104:107], v36, s[92:95], 0 offen offset:2048// 00000000512C: E05C1800 80976824
	v_mfma_i32_16x16x32_i8 v[244:247], a[4:5], v[228:229], v[244:247]// 000000005134: D3D700F4 0FD3C904
	v_mfma_i32_16x16x32_i8 v[244:247], a[6:7], v[230:231], v[244:247]// 00000000513C: D3D700F4 0FD3CD06
	buffer_load_dword v30, s[20:23], 0 offen lds               // 000000005144: E0511000 8005001E
	buffer_load_dword v30, s[20:23], 0 offen offset:256 lds    // 00000000514C: E0511100 8005001E
	s_add_u32 m0, 0x1860, s50                                  // 000000005154: 807C32FF 00001860
	v_mfma_i32_16x16x32_i8 v[244:247], a[8:9], v[232:233], v[244:247]// 00000000515C: D3D700F4 0FD3D108
	v_mfma_i32_16x16x32_i8 v[244:247], a[10:11], v[234:235], v[244:247]// 000000005164: D3D700F4 0FD3D50A
	buffer_load_dwordx4 a[108:111], v36, s[92:95], 0 offen offset:3072// 00000000516C: E05C1C00 80976C24
	v_mfma_i32_16x16x32_i8 v[244:247], a[12:13], v[236:237], v[244:247]// 000000005174: D3D700F4 0FD3D90C
	v_mfma_i32_16x16x32_i8 v[244:247], a[14:15], v[238:239], v[244:247]// 00000000517C: D3D700F4 0FD3DD0E
	buffer_load_dword v31, s[20:23], 0 offen lds               // 000000005184: E0511000 8005001F
	buffer_load_dword v31, s[20:23], 0 offen offset:256 lds    // 00000000518C: E0511100 8005001F
	s_add_u32 m0, 0x2080, s50                                  // 000000005194: 807C32FF 00002080
	v_cvt_f32_i32_e32 v240, v240                               // 00000000519C: 7FE00BF0
	v_cvt_f32_i32_e32 v241, v241                               // 0000000051A0: 7FE20BF1
	v_cvt_f32_i32_e32 v242, v242                               // 0000000051A4: 7FE40BF2
	v_cvt_f32_i32_e32 v243, v243                               // 0000000051A8: 7FE60BF3
	v_pk_fma_f32 v[128:129], v[240:241], v[248:249], v[128:129]// 0000000051AC: D3B04080 1E03F1F0
	v_pk_fma_f32 v[130:131], v[242:243], v[248:249], v[130:131]// 0000000051B4: D3B04082 1E0BF1F2
	v_mfma_i32_16x16x32_i8 v[240:243], a[16:17], v[208:209], 0 // 0000000051BC: D3D700F0 0A03A110
	v_mfma_i32_16x16x32_i8 v[240:243], a[18:19], v[210:211], v[240:243]// 0000000051C4: D3D700F0 0FC3A512
	buffer_load_dwordx4 a[112:115], v37, s[92:95], 0 offen     // 0000000051CC: E05C1000 80977025
	v_mfma_i32_16x16x32_i8 v[240:243], a[20:21], v[212:213], v[240:243]// 0000000051D4: D3D700F0 0FC3A914
	v_mfma_i32_16x16x32_i8 v[240:243], a[22:23], v[214:215], v[240:243]// 0000000051DC: D3D700F0 0FC3AD16
	buffer_load_dword v32, s[20:23], 0 offen lds               // 0000000051E4: E0511000 80050020
	buffer_load_dword v32, s[20:23], 0 offen offset:256 lds    // 0000000051EC: E0511100 80050020
	s_add_u32 m0, 0x28a0, s50                                  // 0000000051F4: 807C32FF 000028A0
	v_mfma_i32_16x16x32_i8 v[240:243], a[24:25], v[216:217], v[240:243]// 0000000051FC: D3D700F0 0FC3B118
	v_mfma_i32_16x16x32_i8 v[240:243], a[26:27], v[218:219], v[240:243]// 000000005204: D3D700F0 0FC3B51A
	buffer_load_dwordx4 a[116:119], v37, s[92:95], 0 offen offset:1024// 00000000520C: E05C1400 80977425
	v_mfma_i32_16x16x32_i8 v[240:243], a[28:29], v[220:221], v[240:243]// 000000005214: D3D700F0 0FC3B91C
	v_mfma_i32_16x16x32_i8 v[240:243], a[30:31], v[222:223], v[240:243]// 00000000521C: D3D700F0 0FC3BD1E
	buffer_load_dword v33, s[20:23], 0 offen lds               // 000000005224: E0511000 80050021
	buffer_load_dword v33, s[20:23], 0 offen offset:256 lds    // 00000000522C: E0511100 80050021
	s_add_u32 m0, 0x30c0, s50                                  // 000000005234: 807C32FF 000030C0
	v_cvt_f32_i32_e32 v244, v244                               // 00000000523C: 7FE80BF4
	v_cvt_f32_i32_e32 v245, v245                               // 000000005240: 7FEA0BF5
	v_cvt_f32_i32_e32 v246, v246                               // 000000005244: 7FEC0BF6
	v_cvt_f32_i32_e32 v247, v247                               // 000000005248: 7FEE0BF7
	v_pk_fma_f32 v[132:133], v[244:245], v[250:251], v[132:133]// 00000000524C: D3B04084 1E13F5F4
	v_pk_fma_f32 v[134:135], v[246:247], v[250:251], v[134:135]// 000000005254: D3B04086 1E1BF5F6
	v_mfma_i32_16x16x32_i8 v[244:247], a[16:17], v[224:225], 0 // 00000000525C: D3D700F4 0A03C110
	v_mfma_i32_16x16x32_i8 v[244:247], a[18:19], v[226:227], v[244:247]// 000000005264: D3D700F4 0FD3C512
	buffer_load_dwordx4 a[120:123], v37, s[92:95], 0 offen offset:2048// 00000000526C: E05C1800 80977825
	v_mfma_i32_16x16x32_i8 v[244:247], a[20:21], v[228:229], v[244:247]// 000000005274: D3D700F4 0FD3C914
	v_mfma_i32_16x16x32_i8 v[244:247], a[22:23], v[230:231], v[244:247]// 00000000527C: D3D700F4 0FD3CD16
	buffer_load_dword v34, s[20:23], 0 offen lds               // 000000005284: E0511000 80050022
	buffer_load_dword v34, s[20:23], 0 offen offset:256 lds    // 00000000528C: E0511100 80050022
	s_add_u32 m0, 0x38e0, s50                                  // 000000005294: 807C32FF 000038E0
	v_mfma_i32_16x16x32_i8 v[244:247], a[24:25], v[232:233], v[244:247]// 00000000529C: D3D700F4 0FD3D118
	v_mfma_i32_16x16x32_i8 v[244:247], a[26:27], v[234:235], v[244:247]// 0000000052A4: D3D700F4 0FD3D51A
	buffer_load_dwordx4 a[124:127], v37, s[92:95], 0 offen offset:3072// 0000000052AC: E05C1C00 80977C25
	v_mfma_i32_16x16x32_i8 v[244:247], a[28:29], v[236:237], v[244:247]// 0000000052B4: D3D700F4 0FD3D91C
	v_mfma_i32_16x16x32_i8 v[244:247], a[30:31], v[238:239], v[244:247]// 0000000052BC: D3D700F4 0FD3DD1E
	buffer_load_dword v35, s[20:23], 0 offen lds               // 0000000052C4: E0511000 80050023
	buffer_load_dword v35, s[20:23], 0 offen offset:256 lds    // 0000000052CC: E0511100 80050023
	s_add_u32 m0, 0, s51                                       // 0000000052D4: 807C3380
	buffer_load_dword v14, v6, s[28:31], 0 offen               // 0000000052D8: E0501000 80070E06
	v_cvt_f32_i32_e32 v240, v240                               // 0000000052E0: 7FE00BF0
	v_cvt_f32_i32_e32 v241, v241                               // 0000000052E4: 7FE20BF1
	v_cvt_f32_i32_e32 v242, v242                               // 0000000052E8: 7FE40BF2
	v_cvt_f32_i32_e32 v243, v243                               // 0000000052EC: 7FE60BF3
	v_pk_fma_f32 v[136:137], v[240:241], v[248:249], v[136:137]// 0000000052F0: D3B04088 1E23F1F0
	v_pk_fma_f32 v[138:139], v[242:243], v[248:249], v[138:139]// 0000000052F8: D3B0408A 1E2BF1F2
	s_waitcnt vmcnt(37)                                        // 000000005300: BF8C8F75
	v_mfma_i32_16x16x32_i8 v[240:243], a[32:33], v[208:209], 0 // 000000005304: D3D700F0 0A03A120
	v_mfma_i32_16x16x32_i8 v[240:243], a[34:35], v[210:211], v[240:243]// 00000000530C: D3D700F0 0FC3A522
	buffer_load_dwordx4 a[128:131], v38, s[92:95], 0 offen     // 000000005314: E05C1000 80978026
	v_mfma_i32_16x16x32_i8 v[240:243], a[36:37], v[212:213], v[240:243]// 00000000531C: D3D700F0 0FC3A924
	v_mfma_i32_16x16x32_i8 v[240:243], a[38:39], v[214:215], v[240:243]// 000000005324: D3D700F0 0FC3AD26
	v_mfma_i32_16x16x32_i8 v[240:243], a[40:41], v[216:217], v[240:243]// 00000000532C: D3D700F0 0FC3B128
	v_mfma_i32_16x16x32_i8 v[240:243], a[42:43], v[218:219], v[240:243]// 000000005334: D3D700F0 0FC3B52A
	buffer_load_dwordx4 a[132:135], v38, s[92:95], 0 offen offset:1024// 00000000533C: E05C1400 80978426
	v_mfma_i32_16x16x32_i8 v[240:243], a[44:45], v[220:221], v[240:243]// 000000005344: D3D700F0 0FC3B92C
	v_mfma_i32_16x16x32_i8 v[240:243], a[46:47], v[222:223], v[240:243]// 00000000534C: D3D700F0 0FC3BD2E
	v_cvt_f32_i32_e32 v244, v244                               // 000000005354: 7FE80BF4
	v_cvt_f32_i32_e32 v245, v245                               // 000000005358: 7FEA0BF5
	v_cvt_f32_i32_e32 v246, v246                               // 00000000535C: 7FEC0BF6
	v_cvt_f32_i32_e32 v247, v247                               // 000000005360: 7FEE0BF7
	v_pk_fma_f32 v[140:141], v[244:245], v[250:251], v[140:141]// 000000005364: D3B0408C 1E33F5F4
	v_pk_fma_f32 v[142:143], v[246:247], v[250:251], v[142:143]// 00000000536C: D3B0408E 1E3BF5F6
	v_mfma_i32_16x16x32_i8 v[244:247], a[32:33], v[224:225], 0 // 000000005374: D3D700F4 0A03C120
	v_mfma_i32_16x16x32_i8 v[244:247], a[34:35], v[226:227], v[244:247]// 00000000537C: D3D700F4 0FD3C522
	buffer_load_dwordx4 a[136:139], v38, s[92:95], 0 offen offset:2048// 000000005384: E05C1800 80978826
	v_mfma_i32_16x16x32_i8 v[244:247], a[36:37], v[228:229], v[244:247]// 00000000538C: D3D700F4 0FD3C924
	v_mfma_i32_16x16x32_i8 v[244:247], a[38:39], v[230:231], v[244:247]// 000000005394: D3D700F4 0FD3CD26
	v_mfma_i32_16x16x32_i8 v[244:247], a[40:41], v[232:233], v[244:247]// 00000000539C: D3D700F4 0FD3D128
	v_mfma_i32_16x16x32_i8 v[244:247], a[42:43], v[234:235], v[244:247]// 0000000053A4: D3D700F4 0FD3D52A
	buffer_load_dwordx4 a[140:143], v38, s[92:95], 0 offen offset:3072// 0000000053AC: E05C1C00 80978C26
	v_mfma_i32_16x16x32_i8 v[244:247], a[44:45], v[236:237], v[244:247]// 0000000053B4: D3D700F4 0FD3D92C
	v_mfma_i32_16x16x32_i8 v[244:247], a[46:47], v[238:239], v[244:247]// 0000000053BC: D3D700F4 0FD3DD2E
	v_cvt_f32_i32_e32 v240, v240                               // 0000000053C4: 7FE00BF0
	v_cvt_f32_i32_e32 v241, v241                               // 0000000053C8: 7FE20BF1
	v_cvt_f32_i32_e32 v242, v242                               // 0000000053CC: 7FE40BF2
	v_cvt_f32_i32_e32 v243, v243                               // 0000000053D0: 7FE60BF3
	v_pk_fma_f32 v[144:145], v[240:241], v[248:249], v[144:145]// 0000000053D4: D3B04090 1E43F1F0
	v_pk_fma_f32 v[146:147], v[242:243], v[248:249], v[146:147]// 0000000053DC: D3B04092 1E4BF1F2
	s_waitcnt vmcnt(37)                                        // 0000000053E4: BF8C8F75
	v_mfma_i32_16x16x32_i8 v[240:243], a[48:49], v[208:209], 0 // 0000000053E8: D3D700F0 0A03A130
	v_mfma_i32_16x16x32_i8 v[240:243], a[50:51], v[210:211], v[240:243]// 0000000053F0: D3D700F0 0FC3A532
	buffer_load_dwordx4 a[144:147], v39, s[92:95], 0 offen     // 0000000053F8: E05C1000 80979027
	v_mfma_i32_16x16x32_i8 v[240:243], a[52:53], v[212:213], v[240:243]// 000000005400: D3D700F0 0FC3A934
	v_mfma_i32_16x16x32_i8 v[240:243], a[54:55], v[214:215], v[240:243]// 000000005408: D3D700F0 0FC3AD36
	v_mfma_i32_16x16x32_i8 v[240:243], a[56:57], v[216:217], v[240:243]// 000000005410: D3D700F0 0FC3B138
	v_mfma_i32_16x16x32_i8 v[240:243], a[58:59], v[218:219], v[240:243]// 000000005418: D3D700F0 0FC3B53A
	buffer_load_dwordx4 a[148:151], v39, s[92:95], 0 offen offset:1024// 000000005420: E05C1400 80979427
	v_mfma_i32_16x16x32_i8 v[240:243], a[60:61], v[220:221], v[240:243]// 000000005428: D3D700F0 0FC3B93C
	v_mfma_i32_16x16x32_i8 v[240:243], a[62:63], v[222:223], v[240:243]// 000000005430: D3D700F0 0FC3BD3E
	v_cvt_f32_i32_e32 v244, v244                               // 000000005438: 7FE80BF4
	v_cvt_f32_i32_e32 v245, v245                               // 00000000543C: 7FEA0BF5
	v_cvt_f32_i32_e32 v246, v246                               // 000000005440: 7FEC0BF6
	v_cvt_f32_i32_e32 v247, v247                               // 000000005444: 7FEE0BF7
	v_pk_fma_f32 v[148:149], v[244:245], v[250:251], v[148:149]// 000000005448: D3B04094 1E53F5F4
	v_pk_fma_f32 v[150:151], v[246:247], v[250:251], v[150:151]// 000000005450: D3B04096 1E5BF5F6
	v_mfma_i32_16x16x32_i8 v[244:247], a[48:49], v[224:225], 0 // 000000005458: D3D700F4 0A03C130
	v_mfma_i32_16x16x32_i8 v[244:247], a[50:51], v[226:227], v[244:247]// 000000005460: D3D700F4 0FD3C532
	buffer_load_dwordx4 a[152:155], v39, s[92:95], 0 offen offset:2048// 000000005468: E05C1800 80979827
	v_mfma_i32_16x16x32_i8 v[244:247], a[52:53], v[228:229], v[244:247]// 000000005470: D3D700F4 0FD3C934
	v_mfma_i32_16x16x32_i8 v[244:247], a[54:55], v[230:231], v[244:247]// 000000005478: D3D700F4 0FD3CD36
	v_mfma_i32_16x16x32_i8 v[244:247], a[56:57], v[232:233], v[244:247]// 000000005480: D3D700F4 0FD3D138
	v_mfma_i32_16x16x32_i8 v[244:247], a[58:59], v[234:235], v[244:247]// 000000005488: D3D700F4 0FD3D53A
	buffer_load_dwordx4 a[156:159], v39, s[92:95], 0 offen offset:3072// 000000005490: E05C1C00 80979C27
	v_mfma_i32_16x16x32_i8 v[244:247], a[60:61], v[236:237], v[244:247]// 000000005498: D3D700F4 0FD3D93C
	v_mfma_i32_16x16x32_i8 v[244:247], a[62:63], v[238:239], v[244:247]// 0000000054A0: D3D700F4 0FD3DD3E
	v_cvt_f32_i32_e32 v240, v240                               // 0000000054A8: 7FE00BF0
	v_cvt_f32_i32_e32 v241, v241                               // 0000000054AC: 7FE20BF1
	v_cvt_f32_i32_e32 v242, v242                               // 0000000054B0: 7FE40BF2
	v_cvt_f32_i32_e32 v243, v243                               // 0000000054B4: 7FE60BF3
	v_pk_fma_f32 v[152:153], v[240:241], v[248:249], v[152:153]// 0000000054B8: D3B04098 1E63F1F0
	v_pk_fma_f32 v[154:155], v[242:243], v[248:249], v[154:155]// 0000000054C0: D3B0409A 1E6BF1F2
	s_waitcnt vmcnt(37)                                        // 0000000054C8: BF8C8F75
	v_mfma_i32_16x16x32_i8 v[240:243], a[64:65], v[208:209], 0 // 0000000054CC: D3D700F0 0A03A140
	v_mfma_i32_16x16x32_i8 v[240:243], a[66:67], v[210:211], v[240:243]// 0000000054D4: D3D700F0 0FC3A542
	buffer_load_dwordx4 a[160:163], v40, s[92:95], 0 offen     // 0000000054DC: E05C1000 8097A028
	v_mfma_i32_16x16x32_i8 v[240:243], a[68:69], v[212:213], v[240:243]// 0000000054E4: D3D700F0 0FC3A944
	v_mfma_i32_16x16x32_i8 v[240:243], a[70:71], v[214:215], v[240:243]// 0000000054EC: D3D700F0 0FC3AD46
	v_mfma_i32_16x16x32_i8 v[240:243], a[72:73], v[216:217], v[240:243]// 0000000054F4: D3D700F0 0FC3B148
	v_mfma_i32_16x16x32_i8 v[240:243], a[74:75], v[218:219], v[240:243]// 0000000054FC: D3D700F0 0FC3B54A
	buffer_load_dwordx4 a[164:167], v40, s[92:95], 0 offen offset:1024// 000000005504: E05C1400 8097A428
	v_mfma_i32_16x16x32_i8 v[240:243], a[76:77], v[220:221], v[240:243]// 00000000550C: D3D700F0 0FC3B94C
	v_mfma_i32_16x16x32_i8 v[240:243], a[78:79], v[222:223], v[240:243]// 000000005514: D3D700F0 0FC3BD4E
	v_cvt_f32_i32_e32 v244, v244                               // 00000000551C: 7FE80BF4
	v_cvt_f32_i32_e32 v245, v245                               // 000000005520: 7FEA0BF5
	v_cvt_f32_i32_e32 v246, v246                               // 000000005524: 7FEC0BF6
	v_cvt_f32_i32_e32 v247, v247                               // 000000005528: 7FEE0BF7
	v_pk_fma_f32 v[156:157], v[244:245], v[250:251], v[156:157]// 00000000552C: D3B0409C 1E73F5F4
	v_pk_fma_f32 v[158:159], v[246:247], v[250:251], v[158:159]// 000000005534: D3B0409E 1E7BF5F6
	v_mfma_i32_16x16x32_i8 v[244:247], a[64:65], v[224:225], 0 // 00000000553C: D3D700F4 0A03C140
	v_mfma_i32_16x16x32_i8 v[244:247], a[66:67], v[226:227], v[244:247]// 000000005544: D3D700F4 0FD3C542
	buffer_load_dwordx4 a[168:171], v40, s[92:95], 0 offen offset:2048// 00000000554C: E05C1800 8097A828
	v_mfma_i32_16x16x32_i8 v[244:247], a[68:69], v[228:229], v[244:247]// 000000005554: D3D700F4 0FD3C944
	v_mfma_i32_16x16x32_i8 v[244:247], a[70:71], v[230:231], v[244:247]// 00000000555C: D3D700F4 0FD3CD46
	v_mfma_i32_16x16x32_i8 v[244:247], a[72:73], v[232:233], v[244:247]// 000000005564: D3D700F4 0FD3D148
	v_mfma_i32_16x16x32_i8 v[244:247], a[74:75], v[234:235], v[244:247]// 00000000556C: D3D700F4 0FD3D54A
	buffer_load_dwordx4 a[172:175], v40, s[92:95], 0 offen offset:3072// 000000005574: E05C1C00 8097AC28
	v_mfma_i32_16x16x32_i8 v[244:247], a[76:77], v[236:237], v[244:247]// 00000000557C: D3D700F4 0FD3D94C
	v_mfma_i32_16x16x32_i8 v[244:247], a[78:79], v[238:239], v[244:247]// 000000005584: D3D700F4 0FD3DD4E
	v_cvt_f32_i32_e32 v240, v240                               // 00000000558C: 7FE00BF0
	v_cvt_f32_i32_e32 v241, v241                               // 000000005590: 7FE20BF1
	v_cvt_f32_i32_e32 v242, v242                               // 000000005594: 7FE40BF2
	v_cvt_f32_i32_e32 v243, v243                               // 000000005598: 7FE60BF3
	v_pk_fma_f32 v[160:161], v[240:241], v[248:249], v[160:161]// 00000000559C: D3B040A0 1E83F1F0
	v_pk_fma_f32 v[162:163], v[242:243], v[248:249], v[162:163]// 0000000055A4: D3B040A2 1E8BF1F2
	s_waitcnt vmcnt(37)                                        // 0000000055AC: BF8C8F75
	v_mfma_i32_16x16x32_i8 v[240:243], a[80:81], v[208:209], 0 // 0000000055B0: D3D700F0 0A03A150
	v_mfma_i32_16x16x32_i8 v[240:243], a[82:83], v[210:211], v[240:243]// 0000000055B8: D3D700F0 0FC3A552
	buffer_load_dwordx4 a[176:179], v41, s[92:95], 0 offen     // 0000000055C0: E05C1000 8097B029
	v_mfma_i32_16x16x32_i8 v[240:243], a[84:85], v[212:213], v[240:243]// 0000000055C8: D3D700F0 0FC3A954
	v_mfma_i32_16x16x32_i8 v[240:243], a[86:87], v[214:215], v[240:243]// 0000000055D0: D3D700F0 0FC3AD56
	v_mfma_i32_16x16x32_i8 v[240:243], a[88:89], v[216:217], v[240:243]// 0000000055D8: D3D700F0 0FC3B158
	v_mfma_i32_16x16x32_i8 v[240:243], a[90:91], v[218:219], v[240:243]// 0000000055E0: D3D700F0 0FC3B55A
	buffer_load_dwordx4 a[180:183], v41, s[92:95], 0 offen offset:1024// 0000000055E8: E05C1400 8097B429
	v_mfma_i32_16x16x32_i8 v[240:243], a[92:93], v[220:221], v[240:243]// 0000000055F0: D3D700F0 0FC3B95C
	v_mfma_i32_16x16x32_i8 v[240:243], a[94:95], v[222:223], v[240:243]// 0000000055F8: D3D700F0 0FC3BD5E
	v_cvt_f32_i32_e32 v244, v244                               // 000000005600: 7FE80BF4
	v_cvt_f32_i32_e32 v245, v245                               // 000000005604: 7FEA0BF5
	v_cvt_f32_i32_e32 v246, v246                               // 000000005608: 7FEC0BF6
	v_cvt_f32_i32_e32 v247, v247                               // 00000000560C: 7FEE0BF7
	v_pk_fma_f32 v[164:165], v[244:245], v[250:251], v[164:165]// 000000005610: D3B040A4 1E93F5F4
	v_pk_fma_f32 v[166:167], v[246:247], v[250:251], v[166:167]// 000000005618: D3B040A6 1E9BF5F6
	v_mfma_i32_16x16x32_i8 v[244:247], a[80:81], v[224:225], 0 // 000000005620: D3D700F4 0A03C150
	v_mfma_i32_16x16x32_i8 v[244:247], a[82:83], v[226:227], v[244:247]// 000000005628: D3D700F4 0FD3C552
	buffer_load_dwordx4 a[184:187], v41, s[92:95], 0 offen offset:2048// 000000005630: E05C1800 8097B829
	v_mfma_i32_16x16x32_i8 v[244:247], a[84:85], v[228:229], v[244:247]// 000000005638: D3D700F4 0FD3C954
	v_mfma_i32_16x16x32_i8 v[244:247], a[86:87], v[230:231], v[244:247]// 000000005640: D3D700F4 0FD3CD56
	v_mfma_i32_16x16x32_i8 v[244:247], a[88:89], v[232:233], v[244:247]// 000000005648: D3D700F4 0FD3D158
	v_mfma_i32_16x16x32_i8 v[244:247], a[90:91], v[234:235], v[244:247]// 000000005650: D3D700F4 0FD3D55A
	buffer_load_dwordx4 a[188:191], v41, s[92:95], 0 offen offset:3072// 000000005658: E05C1C00 8097BC29
	v_mfma_i32_16x16x32_i8 v[244:247], a[92:93], v[236:237], v[244:247]// 000000005660: D3D700F4 0FD3D95C
	v_mfma_i32_16x16x32_i8 v[244:247], a[94:95], v[238:239], v[244:247]// 000000005668: D3D700F4 0FD3DD5E
	v_cvt_f32_i32_e32 v240, v240                               // 000000005670: 7FE00BF0
	v_cvt_f32_i32_e32 v241, v241                               // 000000005674: 7FE20BF1
	v_cvt_f32_i32_e32 v242, v242                               // 000000005678: 7FE40BF2
	v_cvt_f32_i32_e32 v243, v243                               // 00000000567C: 7FE60BF3
	v_pk_fma_f32 v[168:169], v[240:241], v[248:249], v[168:169]// 000000005680: D3B040A8 1EA3F1F0
	v_pk_fma_f32 v[170:171], v[242:243], v[248:249], v[170:171]// 000000005688: D3B040AA 1EABF1F2
	v_cvt_f32_i32_e32 v244, v244                               // 000000005690: 7FE80BF4
	v_cvt_f32_i32_e32 v245, v245                               // 000000005694: 7FEA0BF5
	v_cvt_f32_i32_e32 v246, v246                               // 000000005698: 7FEC0BF6
	v_cvt_f32_i32_e32 v247, v247                               // 00000000569C: 7FEE0BF7
	v_pk_fma_f32 v[172:173], v[244:245], v[250:251], v[172:173]// 0000000056A0: D3B040AC 1EB3F5F4
	v_pk_fma_f32 v[174:175], v[246:247], v[250:251], v[174:175]// 0000000056A8: D3B040AE 1EBBF5F6
	s_waitcnt vmcnt(16)                                        // 0000000056B0: BF8C4F70
	s_barrier                                                  // 0000000056B4: BF8A0000
	v_mfma_i32_16x16x32_i8 v[240:243], a[96:97], v[208:209], 0 // 0000000056B8: D3D700F0 0A03A160
	ds_read_b64 v[176:177], v2 offset:2048                     // 0000000056C0: D8EC0800 B0000002
	ds_read_b64 v[180:181], v2 offset:10368                    // 0000000056C8: D8EC2880 B4000002
	v_mfma_i32_16x16x32_i8 v[240:243], a[98:99], v[210:211], v[240:243]// 0000000056D0: D3D700F0 0FC3A562
	buffer_load_dwordx4 a[0:3], v36, s[24:27], 0 offen         // 0000000056D8: E05C1000 80860024
	v_mfma_i32_16x16x32_i8 v[240:243], a[100:101], v[212:213], v[240:243]// 0000000056E0: D3D700F0 0FC3A964
	ds_read_b64 v[184:185], v2 offset:2176                     // 0000000056E8: D8EC0880 B8000002
	ds_read_b64 v[188:189], v2 offset:10496                    // 0000000056F0: D8EC2900 BC000002
	v_mfma_i32_16x16x32_i8 v[240:243], a[102:103], v[214:215], v[240:243]// 0000000056F8: D3D700F0 0FC3AD66
	v_mfma_i32_16x16x32_i8 v[240:243], a[104:105], v[216:217], v[240:243]// 000000005700: D3D700F0 0FC3B168
	ds_read_b64 v[192:193], v2 offset:2304                     // 000000005708: D8EC0900 C0000002
	ds_read_b64 v[196:197], v2 offset:10624                    // 000000005710: D8EC2980 C4000002
	v_mfma_i32_16x16x32_i8 v[240:243], a[106:107], v[218:219], v[240:243]// 000000005718: D3D700F0 0FC3B56A
	buffer_load_dwordx4 a[4:7], v36, s[24:27], 0 offen offset:1024// 000000005720: E05C1400 80860424
	v_mfma_i32_16x16x32_i8 v[240:243], a[108:109], v[220:221], v[240:243]// 000000005728: D3D700F0 0FC3B96C
	ds_read_b64 v[200:201], v2 offset:2432                     // 000000005730: D8EC0980 C8000002
	ds_read_b64 v[204:205], v2 offset:10752                    // 000000005738: D8EC2A00 CC000002
	v_mfma_i32_16x16x32_i8 v[240:243], a[110:111], v[222:223], v[240:243]// 000000005740: D3D700F0 0FC3BD6E
	s_waitcnt lgkmcnt(4)                                       // 000000005748: BF8CC47F
	v_and_b32_e32 v179, 0xffff0000, v177                       // 00000000574C: 276762FF FFFF0000
	v_lshlrev_b32_e32 v178, 16, v177                           // 000000005754: 25656290
	v_and_b32_e32 v177, 0xffff0000, v176                       // 000000005758: 276360FF FFFF0000
	v_lshlrev_b32_e32 v176, 16, v176                           // 000000005760: 25616090
	v_and_b32_e32 v183, 0xffff0000, v181                       // 000000005764: 276F6AFF FFFF0000
	v_lshlrev_b32_e32 v182, 16, v181                           // 00000000576C: 256D6A90
	v_and_b32_e32 v181, 0xffff0000, v180                       // 000000005770: 276B68FF FFFF0000
	v_lshlrev_b32_e32 v180, 16, v180                           // 000000005778: 25696890
	v_and_b32_e32 v187, 0xffff0000, v185                       // 00000000577C: 277772FF FFFF0000
	v_lshlrev_b32_e32 v186, 16, v185                           // 000000005784: 25757290
	v_and_b32_e32 v185, 0xffff0000, v184                       // 000000005788: 277370FF FFFF0000
	v_lshlrev_b32_e32 v184, 16, v184                           // 000000005790: 25717090
	v_and_b32_e32 v191, 0xffff0000, v189                       // 000000005794: 277F7AFF FFFF0000
	v_lshlrev_b32_e32 v190, 16, v189                           // 00000000579C: 257D7A90
	v_and_b32_e32 v189, 0xffff0000, v188                       // 0000000057A0: 277B78FF FFFF0000
	v_lshlrev_b32_e32 v188, 16, v188                           // 0000000057A8: 25797890
	v_mul_f32_dpp v176, v14, v176 row_newbcast:0 row_mask:0xf bank_mask:0xf// 0000000057AC: 0B6160FA FF01500E
	v_mul_f32_dpp v177, v14, v177 row_newbcast:1 row_mask:0xf bank_mask:0xf// 0000000057B4: 0B6362FA FF01510E
	v_mul_f32_dpp v178, v14, v178 row_newbcast:2 row_mask:0xf bank_mask:0xf// 0000000057BC: 0B6564FA FF01520E
	v_mul_f32_dpp v179, v14, v179 row_newbcast:3 row_mask:0xf bank_mask:0xf// 0000000057C4: 0B6766FA FF01530E
	v_mul_f32_dpp v180, v14, v180 row_newbcast:0 row_mask:0xf bank_mask:0xf// 0000000057CC: 0B6968FA FF01500E
	v_mul_f32_dpp v181, v14, v181 row_newbcast:1 row_mask:0xf bank_mask:0xf// 0000000057D4: 0B6B6AFA FF01510E
	v_mul_f32_dpp v182, v14, v182 row_newbcast:2 row_mask:0xf bank_mask:0xf// 0000000057DC: 0B6D6CFA FF01520E
	v_mul_f32_dpp v183, v14, v183 row_newbcast:3 row_mask:0xf bank_mask:0xf// 0000000057E4: 0B6F6EFA FF01530E
	v_mul_f32_dpp v184, v14, v184 row_newbcast:4 row_mask:0xf bank_mask:0xf// 0000000057EC: 0B7170FA FF01540E
	v_mul_f32_dpp v185, v14, v185 row_newbcast:5 row_mask:0xf bank_mask:0xf// 0000000057F4: 0B7372FA FF01550E
	v_mul_f32_dpp v186, v14, v186 row_newbcast:6 row_mask:0xf bank_mask:0xf// 0000000057FC: 0B7574FA FF01560E
	v_mul_f32_dpp v187, v14, v187 row_newbcast:7 row_mask:0xf bank_mask:0xf// 000000005804: 0B7776FA FF01570E
	v_mul_f32_dpp v188, v14, v188 row_newbcast:4 row_mask:0xf bank_mask:0xf// 00000000580C: 0B7978FA FF01540E
	v_mul_f32_dpp v189, v14, v189 row_newbcast:5 row_mask:0xf bank_mask:0xf// 000000005814: 0B7B7AFA FF01550E
	v_mul_f32_dpp v190, v14, v190 row_newbcast:6 row_mask:0xf bank_mask:0xf// 00000000581C: 0B7D7CFA FF01560E
	v_mul_f32_dpp v191, v14, v191 row_newbcast:7 row_mask:0xf bank_mask:0xf// 000000005824: 0B7F7EFA FF01570E
	v_mfma_i32_16x16x32_i8 v[244:247], a[96:97], v[224:225], 0 // 00000000582C: D3D700F4 0A03C160
	v_mfma_i32_16x16x32_i8 v[244:247], a[98:99], v[226:227], v[244:247]// 000000005834: D3D700F4 0FD3C562
	buffer_load_dwordx4 a[8:11], v36, s[24:27], 0 offen offset:2048// 00000000583C: E05C1800 80860824
	v_mfma_i32_16x16x32_i8 v[244:247], a[100:101], v[228:229], v[244:247]// 000000005844: D3D700F4 0FD3C964
	v_mfma_i32_16x16x32_i8 v[244:247], a[102:103], v[230:231], v[244:247]// 00000000584C: D3D700F4 0FD3CD66
	v_mfma_i32_16x16x32_i8 v[244:247], a[104:105], v[232:233], v[244:247]// 000000005854: D3D700F4 0FD3D168
	v_mfma_i32_16x16x32_i8 v[244:247], a[106:107], v[234:235], v[244:247]// 00000000585C: D3D700F4 0FD3D56A
	buffer_load_dwordx4 a[12:15], v36, s[24:27], 0 offen offset:3072// 000000005864: E05C1C00 80860C24
	v_mfma_i32_16x16x32_i8 v[244:247], a[108:109], v[236:237], v[244:247]// 00000000586C: D3D700F4 0FD3D96C
	v_mfma_i32_16x16x32_i8 v[244:247], a[110:111], v[238:239], v[244:247]// 000000005874: D3D700F4 0FD3DD6E
	s_waitcnt lgkmcnt(0)                                       // 00000000587C: BF8CC07F
	v_and_b32_e32 v195, 0xffff0000, v193                       // 000000005880: 278782FF FFFF0000
	v_lshlrev_b32_e32 v194, 16, v193                           // 000000005888: 25858290
	v_and_b32_e32 v193, 0xffff0000, v192                       // 00000000588C: 278380FF FFFF0000
	v_lshlrev_b32_e32 v192, 16, v192                           // 000000005894: 25818090
	v_and_b32_e32 v199, 0xffff0000, v197                       // 000000005898: 278F8AFF FFFF0000
	v_lshlrev_b32_e32 v198, 16, v197                           // 0000000058A0: 258D8A90
	v_and_b32_e32 v197, 0xffff0000, v196                       // 0000000058A4: 278B88FF FFFF0000
	v_lshlrev_b32_e32 v196, 16, v196                           // 0000000058AC: 25898890
	v_and_b32_e32 v203, 0xffff0000, v201                       // 0000000058B0: 279792FF FFFF0000
	v_lshlrev_b32_e32 v202, 16, v201                           // 0000000058B8: 25959290
	v_and_b32_e32 v201, 0xffff0000, v200                       // 0000000058BC: 279390FF FFFF0000
	v_lshlrev_b32_e32 v200, 16, v200                           // 0000000058C4: 25919090
	v_and_b32_e32 v207, 0xffff0000, v205                       // 0000000058C8: 279F9AFF FFFF0000
	v_lshlrev_b32_e32 v206, 16, v205                           // 0000000058D0: 259D9A90
	v_and_b32_e32 v205, 0xffff0000, v204                       // 0000000058D4: 279B98FF FFFF0000
	v_lshlrev_b32_e32 v204, 16, v204                           // 0000000058DC: 25999890
	v_mul_f32_dpp v192, v14, v192 row_newbcast:8 row_mask:0xf bank_mask:0xf// 0000000058E0: 0B8180FA FF01580E
	v_mul_f32_dpp v193, v14, v193 row_newbcast:9 row_mask:0xf bank_mask:0xf// 0000000058E8: 0B8382FA FF01590E
	v_mul_f32_dpp v194, v14, v194 row_newbcast:10 row_mask:0xf bank_mask:0xf// 0000000058F0: 0B8584FA FF015A0E
	v_mul_f32_dpp v195, v14, v195 row_newbcast:11 row_mask:0xf bank_mask:0xf// 0000000058F8: 0B8786FA FF015B0E
	v_mul_f32_dpp v196, v14, v196 row_newbcast:8 row_mask:0xf bank_mask:0xf// 000000005900: 0B8988FA FF01580E
	v_mul_f32_dpp v197, v14, v197 row_newbcast:9 row_mask:0xf bank_mask:0xf// 000000005908: 0B8B8AFA FF01590E
	v_mul_f32_dpp v198, v14, v198 row_newbcast:10 row_mask:0xf bank_mask:0xf// 000000005910: 0B8D8CFA FF015A0E
	v_mul_f32_dpp v199, v14, v199 row_newbcast:11 row_mask:0xf bank_mask:0xf// 000000005918: 0B8F8EFA FF015B0E
	v_mul_f32_dpp v200, v14, v200 row_newbcast:12 row_mask:0xf bank_mask:0xf// 000000005920: 0B9190FA FF015C0E
	v_mul_f32_dpp v201, v14, v201 row_newbcast:13 row_mask:0xf bank_mask:0xf// 000000005928: 0B9392FA FF015D0E
	v_mul_f32_dpp v202, v14, v202 row_newbcast:14 row_mask:0xf bank_mask:0xf// 000000005930: 0B9594FA FF015E0E
	v_mul_f32_dpp v203, v14, v203 row_newbcast:15 row_mask:0xf bank_mask:0xf// 000000005938: 0B9796FA FF015F0E
	v_mul_f32_dpp v204, v14, v204 row_newbcast:12 row_mask:0xf bank_mask:0xf// 000000005940: 0B9998FA FF015C0E
	v_mul_f32_dpp v205, v14, v205 row_newbcast:13 row_mask:0xf bank_mask:0xf// 000000005948: 0B9B9AFA FF015D0E
	v_mul_f32_dpp v206, v14, v206 row_newbcast:14 row_mask:0xf bank_mask:0xf// 000000005950: 0B9D9CFA FF015E0E
	v_mul_f32_dpp v207, v14, v207 row_newbcast:15 row_mask:0xf bank_mask:0xf// 000000005958: 0B9F9EFA FF015F0E
	v_cvt_f32_i32_e32 v240, v240                               // 000000005960: 7FE00BF0
	v_cvt_f32_i32_e32 v241, v241                               // 000000005964: 7FE20BF1
	v_cvt_f32_i32_e32 v242, v242                               // 000000005968: 7FE40BF2
	v_cvt_f32_i32_e32 v243, v243                               // 00000000596C: 7FE60BF3
	v_pk_fma_f32 v[64:65], v[240:241], v[248:249], v[64:65]    // 000000005970: D3B04040 1D03F1F0
	v_pk_fma_f32 v[66:67], v[242:243], v[248:249], v[66:67]    // 000000005978: D3B04042 1D0BF1F2
	v_mfma_i32_16x16x32_i8 v[240:243], a[112:113], v[208:209], 0// 000000005980: D3D700F0 0A03A170
	v_mfma_i32_16x16x32_i8 v[240:243], a[114:115], v[210:211], v[240:243]// 000000005988: D3D700F0 0FC3A572
	buffer_load_dwordx4 a[16:19], v37, s[24:27], 0 offen       // 000000005990: E05C1000 80861025
	v_mov_b32_e32 v46, 0x358637bd                              // 000000005998: 7E5C02FF 358637BD
	v_mov_b32_e32 v47, 0x358637bd                              // 0000000059A0: 7E5E02FF 358637BD
	v_max3_f32 v46, |v176|, |v177|, v46                        // 0000000059A8: D1D3032E 04BB63B0
	v_max3_f32 v46, |v178|, |v179|, v46                        // 0000000059B0: D1D3032E 04BB67B2
	v_max3_f32 v47, |v180|, |v181|, v47                        // 0000000059B8: D1D3032F 04BF6BB4
	v_max3_f32 v47, |v182|, |v183|, v47                        // 0000000059C0: D1D3032F 04BF6FB6
	v_max3_f32 v46, |v184|, |v185|, v46                        // 0000000059C8: D1D3032E 04BB73B8
	v_max3_f32 v46, |v186|, |v187|, v46                        // 0000000059D0: D1D3032E 04BB77BA
	v_max3_f32 v47, |v188|, |v189|, v47                        // 0000000059D8: D1D3032F 04BF7BBC
	v_max3_f32 v47, |v190|, |v191|, v47                        // 0000000059E0: D1D3032F 04BF7FBE
	v_max3_f32 v46, |v192|, |v193|, v46                        // 0000000059E8: D1D3032E 04BB83C0
	v_max3_f32 v46, |v194|, |v195|, v46                        // 0000000059F0: D1D3032E 04BB87C2
	v_max3_f32 v47, |v196|, |v197|, v47                        // 0000000059F8: D1D3032F 04BF8BC4
	v_max3_f32 v47, |v198|, |v199|, v47                        // 000000005A00: D1D3032F 04BF8FC6
	v_max3_f32 v46, |v200|, |v201|, v46                        // 000000005A08: D1D3032E 04BB93C8
	v_max3_f32 v46, |v202|, |v203|, v46                        // 000000005A10: D1D3032E 04BB97CA
	v_max3_f32 v47, |v204|, |v205|, v47                        // 000000005A18: D1D3032F 04BF9BCC
	v_max3_f32 v47, |v206|, |v207|, v47                        // 000000005A20: D1D3032F 04BF9FCE
	v_mfma_i32_16x16x32_i8 v[240:243], a[116:117], v[212:213], v[240:243]// 000000005A28: D3D700F0 0FC3A974
	ds_write_b64 v3, v[46:47]                                  // 000000005A30: D89A0000 00002E03
	v_mfma_i32_16x16x32_i8 v[240:243], a[118:119], v[214:215], v[240:243]// 000000005A38: D3D700F0 0FC3AD76
	v_mfma_i32_16x16x32_i8 v[240:243], a[120:121], v[216:217], v[240:243]// 000000005A40: D3D700F0 0FC3B178
	v_mfma_i32_16x16x32_i8 v[240:243], a[122:123], v[218:219], v[240:243]// 000000005A48: D3D700F0 0FC3B57A
	buffer_load_dwordx4 a[20:23], v37, s[24:27], 0 offen offset:1024// 000000005A50: E05C1400 80861425
	s_waitcnt lgkmcnt(0)                                       // 000000005A58: BF8CC07F
	s_barrier                                                  // 000000005A5C: BF8A0000
	v_mfma_i32_16x16x32_i8 v[240:243], a[124:125], v[220:221], v[240:243]// 000000005A60: D3D700F0 0FC3B97C
	ds_read_b64 v[46:47], v4                                   // 000000005A68: D8EC0000 2E000004
	ds_read_b64 v[48:49], v4 offset:128                        // 000000005A70: D8EC0080 30000004
	v_mfma_i32_16x16x32_i8 v[240:243], a[126:127], v[222:223], v[240:243]// 000000005A78: D3D700F0 0FC3BD7E
	v_cvt_f32_i32_e32 v244, v244                               // 000000005A80: 7FE80BF4
	v_cvt_f32_i32_e32 v245, v245                               // 000000005A84: 7FEA0BF5
	v_cvt_f32_i32_e32 v246, v246                               // 000000005A88: 7FEC0BF6
	v_cvt_f32_i32_e32 v247, v247                               // 000000005A8C: 7FEE0BF7
	v_pk_fma_f32 v[68:69], v[244:245], v[250:251], v[68:69]    // 000000005A90: D3B04044 1D13F5F4
	v_pk_fma_f32 v[70:71], v[246:247], v[250:251], v[70:71]    // 000000005A98: D3B04046 1D1BF5F6
	v_mfma_i32_16x16x32_i8 v[244:247], a[112:113], v[224:225], 0// 000000005AA0: D3D700F4 0A03C170
	ds_read_b64 v[50:51], v4 offset:256                        // 000000005AA8: D8EC0100 32000004
	ds_read_b64 v[52:53], v4 offset:384                        // 000000005AB0: D8EC0180 34000004
	v_mfma_i32_16x16x32_i8 v[244:247], a[114:115], v[226:227], v[244:247]// 000000005AB8: D3D700F4 0FD3C572
	buffer_load_dwordx4 a[24:27], v37, s[24:27], 0 offen offset:2048// 000000005AC0: E05C1800 80861825
	v_mfma_i32_16x16x32_i8 v[244:247], a[116:117], v[228:229], v[244:247]// 000000005AC8: D3D700F4 0FD3C974
	ds_read_b64 v[54:55], v4 offset:512                        // 000000005AD0: D8EC0200 36000004
	ds_read_b64 v[56:57], v4 offset:640                        // 000000005AD8: D8EC0280 38000004
	v_mfma_i32_16x16x32_i8 v[244:247], a[118:119], v[230:231], v[244:247]// 000000005AE0: D3D700F4 0FD3CD76
	v_mfma_i32_16x16x32_i8 v[244:247], a[120:121], v[232:233], v[244:247]// 000000005AE8: D3D700F4 0FD3D178
	ds_read_b64 v[58:59], v4 offset:768                        // 000000005AF0: D8EC0300 3A000004
	ds_read_b64 v[60:61], v4 offset:896                        // 000000005AF8: D8EC0380 3C000004
	v_mfma_i32_16x16x32_i8 v[244:247], a[122:123], v[234:235], v[244:247]// 000000005B00: D3D700F4 0FD3D57A
	buffer_load_dwordx4 a[28:31], v37, s[24:27], 0 offen offset:3072// 000000005B08: E05C1C00 80861C25
	v_mfma_i32_16x16x32_i8 v[244:247], a[124:125], v[236:237], v[244:247]// 000000005B10: D3D700F4 0FD3D97C
	v_mfma_i32_16x16x32_i8 v[244:247], a[126:127], v[238:239], v[244:247]// 000000005B18: D3D700F4 0FD3DD7E
	v_cvt_f32_i32_e32 v240, v240                               // 000000005B20: 7FE00BF0
	v_cvt_f32_i32_e32 v241, v241                               // 000000005B24: 7FE20BF1
	v_cvt_f32_i32_e32 v242, v242                               // 000000005B28: 7FE40BF2
	v_cvt_f32_i32_e32 v243, v243                               // 000000005B2C: 7FE60BF3
	v_pk_fma_f32 v[72:73], v[240:241], v[248:249], v[72:73]    // 000000005B30: D3B04048 1D23F1F0
	v_pk_fma_f32 v[74:75], v[242:243], v[248:249], v[74:75]    // 000000005B38: D3B0404A 1D2BF1F2
	s_waitcnt vmcnt(20)                                        // 000000005B40: BF8C4F74
	v_mfma_i32_16x16x32_i8 v[240:243], a[128:129], v[208:209], 0// 000000005B44: D3D700F0 0A03A180
	v_mfma_i32_16x16x32_i8 v[240:243], a[130:131], v[210:211], v[240:243]// 000000005B4C: D3D700F0 0FC3A582
	buffer_load_dwordx4 a[32:35], v38, s[24:27], 0 offen       // 000000005B54: E05C1000 80862026
	s_waitcnt lgkmcnt(0)                                       // 000000005B5C: BF8CC07F
	v_mov_b32_e32 v22, 0x358637bd                              // 000000005B60: 7E2C02FF 358637BD
	v_mov_b32_e32 v23, 0x358637bd                              // 000000005B68: 7E2E02FF 358637BD
	v_max3_f32 v22, |v46|, |v48|, v22                          // 000000005B70: D1D30316 045A612E
	v_max3_f32 v23, |v47|, |v49|, v23                          // 000000005B78: D1D30317 045E632F
	v_max3_f32 v22, |v50|, |v52|, v22                          // 000000005B80: D1D30316 045A6932
	v_max3_f32 v23, |v51|, |v53|, v23                          // 000000005B88: D1D30317 045E6B33
	v_max3_f32 v22, |v54|, |v56|, v22                          // 000000005B90: D1D30316 045A7136
	v_max3_f32 v23, |v55|, |v57|, v23                          // 000000005B98: D1D30317 045E7337
	v_max3_f32 v22, |v58|, |v60|, v22                          // 000000005BA0: D1D30316 045A793A
	v_max3_f32 v23, |v59|, |v61|, v23                          // 000000005BA8: D1D30317 045E7B3B
	v_mfma_i32_16x16x32_i8 v[240:243], a[132:133], v[212:213], v[240:243]// 000000005BB0: D3D700F0 0FC3A984
	ds_read_b64 v[46:47], v4 offset:1024                       // 000000005BB8: D8EC0400 2E000004
	ds_read_b64 v[48:49], v4 offset:1152                       // 000000005BC0: D8EC0480 30000004
	v_mfma_i32_16x16x32_i8 v[240:243], a[134:135], v[214:215], v[240:243]// 000000005BC8: D3D700F0 0FC3AD86
	v_mfma_i32_16x16x32_i8 v[240:243], a[136:137], v[216:217], v[240:243]// 000000005BD0: D3D700F0 0FC3B188
	ds_read_b64 v[50:51], v4 offset:1280                       // 000000005BD8: D8EC0500 32000004
	ds_read_b64 v[52:53], v4 offset:1408                       // 000000005BE0: D8EC0580 34000004
	v_mfma_i32_16x16x32_i8 v[240:243], a[138:139], v[218:219], v[240:243]// 000000005BE8: D3D700F0 0FC3B58A
	buffer_load_dwordx4 a[36:39], v38, s[24:27], 0 offen offset:1024// 000000005BF0: E05C1400 80862426
	v_mfma_i32_16x16x32_i8 v[240:243], a[140:141], v[220:221], v[240:243]// 000000005BF8: D3D700F0 0FC3B98C
	ds_read_b64 v[54:55], v4 offset:1536                       // 000000005C00: D8EC0600 36000004
	ds_read_b64 v[56:57], v4 offset:1664                       // 000000005C08: D8EC0680 38000004
	v_mfma_i32_16x16x32_i8 v[240:243], a[142:143], v[222:223], v[240:243]// 000000005C10: D3D700F0 0FC3BD8E
	v_cvt_f32_i32_e32 v244, v244                               // 000000005C18: 7FE80BF4
	v_cvt_f32_i32_e32 v245, v245                               // 000000005C1C: 7FEA0BF5
	v_cvt_f32_i32_e32 v246, v246                               // 000000005C20: 7FEC0BF6
	v_cvt_f32_i32_e32 v247, v247                               // 000000005C24: 7FEE0BF7
	v_pk_fma_f32 v[76:77], v[244:245], v[250:251], v[76:77]    // 000000005C28: D3B0404C 1D33F5F4
	v_pk_fma_f32 v[78:79], v[246:247], v[250:251], v[78:79]    // 000000005C30: D3B0404E 1D3BF5F6
	v_mfma_i32_16x16x32_i8 v[244:247], a[128:129], v[224:225], 0// 000000005C38: D3D700F4 0A03C180
	ds_read_b64 v[58:59], v4 offset:1792                       // 000000005C40: D8EC0700 3A000004
	ds_read_b64 v[60:61], v4 offset:1920                       // 000000005C48: D8EC0780 3C000004
	v_mfma_i32_16x16x32_i8 v[244:247], a[130:131], v[226:227], v[244:247]// 000000005C50: D3D700F4 0FD3C582
	buffer_load_dwordx4 a[40:43], v38, s[24:27], 0 offen offset:2048// 000000005C58: E05C1800 80862826
	v_mfma_i32_16x16x32_i8 v[244:247], a[132:133], v[228:229], v[244:247]// 000000005C60: D3D700F4 0FD3C984
	v_mfma_i32_16x16x32_i8 v[244:247], a[134:135], v[230:231], v[244:247]// 000000005C68: D3D700F4 0FD3CD86
	v_mfma_i32_16x16x32_i8 v[244:247], a[136:137], v[232:233], v[244:247]// 000000005C70: D3D700F4 0FD3D188
	v_mfma_i32_16x16x32_i8 v[244:247], a[138:139], v[234:235], v[244:247]// 000000005C78: D3D700F4 0FD3D58A
	buffer_load_dwordx4 a[44:47], v38, s[24:27], 0 offen offset:3072// 000000005C80: E05C1C00 80862C26
	s_waitcnt lgkmcnt(0)                                       // 000000005C88: BF8CC07F
	v_max3_f32 v22, |v46|, |v48|, v22                          // 000000005C8C: D1D30316 045A612E
	v_max3_f32 v23, |v47|, |v49|, v23                          // 000000005C94: D1D30317 045E632F
	v_max3_f32 v22, |v50|, |v52|, v22                          // 000000005C9C: D1D30316 045A6932
	v_max3_f32 v23, |v51|, |v53|, v23                          // 000000005CA4: D1D30317 045E6B33
	v_max3_f32 v22, |v54|, |v56|, v22                          // 000000005CAC: D1D30316 045A7136
	v_max3_f32 v23, |v55|, |v57|, v23                          // 000000005CB4: D1D30317 045E7337
	v_max3_f32 v22, |v58|, |v60|, v22                          // 000000005CBC: D1D30316 045A793A
	v_max3_f32 v23, |v59|, |v61|, v23                          // 000000005CC4: D1D30317 045E7B3B
	v_mov_b32_e32 v42, 0x42fe0000                              // 000000005CCC: 7E5402FF 42FE0000
	v_rcp_f32_e32 v22, v22                                     // 000000005CD4: 7E2C4516
	v_rcp_f32_e32 v23, v23                                     // 000000005CD8: 7E2E4517
	s_nop 1                                                    // 000000005CDC: BF800001
	v_mul_f32_e32 v22, v42, v22                                // 000000005CE0: 0A2C2D2A
	v_mul_f32_e32 v23, v42, v23                                // 000000005CE4: 0A2E2F2A
	v_rcp_f32_e32 v24, v22                                     // 000000005CE8: 7E304516
	v_rcp_f32_e32 v25, v23                                     // 000000005CEC: 7E324517
	v_mov_b32_e32 v42, v22                                     // 000000005CF0: 7E540316
	v_mov_b32_e32 v43, v22                                     // 000000005CF4: 7E560316
	v_mov_b32_e32 v44, v23                                     // 000000005CF8: 7E580317
	v_mov_b32_e32 v45, v23                                     // 000000005CFC: 7E5A0317
	v_pk_mul_f32 v[176:177], v[42:43], v[176:177]              // 000000005D00: D3B140B0 1803612A
	v_pk_mul_f32 v[178:179], v[42:43], v[178:179]              // 000000005D08: D3B140B2 1803652A
	v_cvt_i32_f32_e32 v176, v176                               // 000000005D10: 7F6011B0
	v_cvt_i32_f32_e32 v177, v177                               // 000000005D14: 7F6211B1
	v_cvt_i32_f32_e32 v178, v178                               // 000000005D18: 7F6411B2
	v_cvt_i32_f32_e32 v179, v179                               // 000000005D1C: 7F6611B3
	v_perm_b32 v176, v177, v176, s53                           // 000000005D20: D1ED00B0 00D761B1
	v_perm_b32 v176, v178, v176, s54                           // 000000005D28: D1ED00B0 00DB61B2
	v_perm_b32 v176, v179, v176, s55                           // 000000005D30: D1ED00B0 00DF61B3
	v_pk_mul_f32 v[180:181], v[44:45], v[180:181]              // 000000005D38: D3B140B4 1803692C
	v_pk_mul_f32 v[182:183], v[44:45], v[182:183]              // 000000005D40: D3B140B6 18036D2C
	v_cvt_i32_f32_e32 v180, v180                               // 000000005D48: 7F6811B4
	v_cvt_i32_f32_e32 v181, v181                               // 000000005D4C: 7F6A11B5
	v_cvt_i32_f32_e32 v182, v182                               // 000000005D50: 7F6C11B6
	v_cvt_i32_f32_e32 v183, v183                               // 000000005D54: 7F6E11B7
	v_perm_b32 v177, v181, v180, s53                           // 000000005D58: D1ED00B1 00D769B5
	v_perm_b32 v177, v182, v177, s54                           // 000000005D60: D1ED00B1 00DB63B6
	v_perm_b32 v177, v183, v177, s55                           // 000000005D68: D1ED00B1 00DF63B7
	v_pk_mul_f32 v[184:185], v[42:43], v[184:185]              // 000000005D70: D3B140B8 1803712A
	v_pk_mul_f32 v[186:187], v[42:43], v[186:187]              // 000000005D78: D3B140BA 1803752A
	v_cvt_i32_f32_e32 v184, v184                               // 000000005D80: 7F7011B8
	v_cvt_i32_f32_e32 v185, v185                               // 000000005D84: 7F7211B9
	v_cvt_i32_f32_e32 v186, v186                               // 000000005D88: 7F7411BA
	v_cvt_i32_f32_e32 v187, v187                               // 000000005D8C: 7F7611BB
	v_perm_b32 v178, v185, v184, s53                           // 000000005D90: D1ED00B2 00D771B9
	v_perm_b32 v178, v186, v178, s54                           // 000000005D98: D1ED00B2 00DB65BA
	v_perm_b32 v178, v187, v178, s55                           // 000000005DA0: D1ED00B2 00DF65BB
	v_pk_mul_f32 v[188:189], v[44:45], v[188:189]              // 000000005DA8: D3B140BC 1803792C
	v_pk_mul_f32 v[190:191], v[44:45], v[190:191]              // 000000005DB0: D3B140BE 18037D2C
	v_cvt_i32_f32_e32 v188, v188                               // 000000005DB8: 7F7811BC
	v_cvt_i32_f32_e32 v189, v189                               // 000000005DBC: 7F7A11BD
	v_cvt_i32_f32_e32 v190, v190                               // 000000005DC0: 7F7C11BE
	v_cvt_i32_f32_e32 v191, v191                               // 000000005DC4: 7F7E11BF
	v_perm_b32 v179, v189, v188, s53                           // 000000005DC8: D1ED00B3 00D779BD
	v_perm_b32 v179, v190, v179, s54                           // 000000005DD0: D1ED00B3 00DB67BE
	v_perm_b32 v179, v191, v179, s55                           // 000000005DD8: D1ED00B3 00DF67BF
	v_pk_mul_f32 v[192:193], v[42:43], v[192:193]              // 000000005DE0: D3B140C0 1803812A
	v_pk_mul_f32 v[194:195], v[42:43], v[194:195]              // 000000005DE8: D3B140C2 1803852A
	v_cvt_i32_f32_e32 v192, v192                               // 000000005DF0: 7F8011C0
	v_cvt_i32_f32_e32 v193, v193                               // 000000005DF4: 7F8211C1
	v_cvt_i32_f32_e32 v194, v194                               // 000000005DF8: 7F8411C2
	v_cvt_i32_f32_e32 v195, v195                               // 000000005DFC: 7F8611C3
	v_perm_b32 v180, v193, v192, s53                           // 000000005E00: D1ED00B4 00D781C1
	v_perm_b32 v180, v194, v180, s54                           // 000000005E08: D1ED00B4 00DB69C2
	v_perm_b32 v180, v195, v180, s55                           // 000000005E10: D1ED00B4 00DF69C3
	v_pk_mul_f32 v[196:197], v[44:45], v[196:197]              // 000000005E18: D3B140C4 1803892C
	v_pk_mul_f32 v[198:199], v[44:45], v[198:199]              // 000000005E20: D3B140C6 18038D2C
	v_cvt_i32_f32_e32 v196, v196                               // 000000005E28: 7F8811C4
	v_cvt_i32_f32_e32 v197, v197                               // 000000005E2C: 7F8A11C5
	v_cvt_i32_f32_e32 v198, v198                               // 000000005E30: 7F8C11C6
	v_cvt_i32_f32_e32 v199, v199                               // 000000005E34: 7F8E11C7
	v_perm_b32 v181, v197, v196, s53                           // 000000005E38: D1ED00B5 00D789C5
	v_perm_b32 v181, v198, v181, s54                           // 000000005E40: D1ED00B5 00DB6BC6
	v_perm_b32 v181, v199, v181, s55                           // 000000005E48: D1ED00B5 00DF6BC7
	v_pk_mul_f32 v[200:201], v[42:43], v[200:201]              // 000000005E50: D3B140C8 1803912A
	v_pk_mul_f32 v[202:203], v[42:43], v[202:203]              // 000000005E58: D3B140CA 1803952A
	v_cvt_i32_f32_e32 v200, v200                               // 000000005E60: 7F9011C8
	v_cvt_i32_f32_e32 v201, v201                               // 000000005E64: 7F9211C9
	v_cvt_i32_f32_e32 v202, v202                               // 000000005E68: 7F9411CA
	v_cvt_i32_f32_e32 v203, v203                               // 000000005E6C: 7F9611CB
	v_perm_b32 v182, v201, v200, s53                           // 000000005E70: D1ED00B6 00D791C9
	v_perm_b32 v182, v202, v182, s54                           // 000000005E78: D1ED00B6 00DB6DCA
	v_perm_b32 v182, v203, v182, s55                           // 000000005E80: D1ED00B6 00DF6DCB
	v_pk_mul_f32 v[204:205], v[44:45], v[204:205]              // 000000005E88: D3B140CC 1803992C
	v_pk_mul_f32 v[206:207], v[44:45], v[206:207]              // 000000005E90: D3B140CE 18039D2C
	v_cvt_i32_f32_e32 v204, v204                               // 000000005E98: 7F9811CC
	v_cvt_i32_f32_e32 v205, v205                               // 000000005E9C: 7F9A11CD
	v_cvt_i32_f32_e32 v206, v206                               // 000000005EA0: 7F9C11CE
	v_cvt_i32_f32_e32 v207, v207                               // 000000005EA4: 7F9E11CF
	v_perm_b32 v183, v205, v204, s53                           // 000000005EA8: D1ED00B7 00D799CD
	v_perm_b32 v183, v206, v183, s54                           // 000000005EB0: D1ED00B7 00DB6FCE
	v_perm_b32 v183, v207, v183, s55                           // 000000005EB8: D1ED00B7 00DF6FCF
	v_mfma_i32_16x16x32_i8 v[244:247], a[140:141], v[236:237], v[244:247]// 000000005EC0: D3D700F4 0FD3D98C
	ds_write_b32 v12, v176 offset:2048                         // 000000005EC8: D81A0800 0000B00C
	ds_write_b32 v12, v177 offset:6144                         // 000000005ED0: D81A1800 0000B10C
	v_mfma_i32_16x16x32_i8 v[244:247], a[142:143], v[238:239], v[244:247]// 000000005ED8: D3D700F4 0FD3DD8E
	v_cvt_f32_i32_e32 v240, v240                               // 000000005EE0: 7FE00BF0
	v_cvt_f32_i32_e32 v241, v241                               // 000000005EE4: 7FE20BF1
	v_cvt_f32_i32_e32 v242, v242                               // 000000005EE8: 7FE40BF2
	v_cvt_f32_i32_e32 v243, v243                               // 000000005EEC: 7FE60BF3
	v_pk_fma_f32 v[80:81], v[240:241], v[248:249], v[80:81]    // 000000005EF0: D3B04050 1D43F1F0
	v_pk_fma_f32 v[82:83], v[242:243], v[248:249], v[82:83]    // 000000005EF8: D3B04052 1D4BF1F2
	s_waitcnt vmcnt(20)                                        // 000000005F00: BF8C4F74
	v_mfma_i32_16x16x32_i8 v[240:243], a[144:145], v[208:209], 0// 000000005F04: D3D700F0 0A03A190
	ds_write_b32 v12, v178 offset:3072                         // 000000005F0C: D81A0C00 0000B20C
	ds_write_b32 v12, v179 offset:7168                         // 000000005F14: D81A1C00 0000B30C
	v_mfma_i32_16x16x32_i8 v[240:243], a[146:147], v[210:211], v[240:243]// 000000005F1C: D3D700F0 0FC3A592
	buffer_load_dwordx4 a[48:51], v39, s[24:27], 0 offen       // 000000005F24: E05C1000 80863027
	v_mfma_i32_16x16x32_i8 v[240:243], a[148:149], v[212:213], v[240:243]// 000000005F2C: D3D700F0 0FC3A994
	ds_write_b32 v12, v180 offset:4096                         // 000000005F34: D81A1000 0000B40C
	ds_write_b32 v12, v181 offset:8192                         // 000000005F3C: D81A2000 0000B50C
	v_mfma_i32_16x16x32_i8 v[240:243], a[150:151], v[214:215], v[240:243]// 000000005F44: D3D700F0 0FC3AD96
	v_mfma_i32_16x16x32_i8 v[240:243], a[152:153], v[216:217], v[240:243]// 000000005F4C: D3D700F0 0FC3B198
	ds_write_b32 v12, v182 offset:5120                         // 000000005F54: D81A1400 0000B60C
	ds_write_b32 v12, v183 offset:9216                         // 000000005F5C: D81A2400 0000B70C
	v_mfma_i32_16x16x32_i8 v[240:243], a[154:155], v[218:219], v[240:243]// 000000005F64: D3D700F0 0FC3B59A
	buffer_load_dwordx4 a[52:55], v39, s[24:27], 0 offen offset:1024// 000000005F6C: E05C1400 80863427
	v_mfma_i32_16x16x32_i8 v[240:243], a[156:157], v[220:221], v[240:243]// 000000005F74: D3D700F0 0FC3B99C
	v_mfma_i32_16x16x32_i8 v[240:243], a[158:159], v[222:223], v[240:243]// 000000005F7C: D3D700F0 0FC3BD9E
	v_cvt_f32_i32_e32 v244, v244                               // 000000005F84: 7FE80BF4
	v_cvt_f32_i32_e32 v245, v245                               // 000000005F88: 7FEA0BF5
	v_cvt_f32_i32_e32 v246, v246                               // 000000005F8C: 7FEC0BF6
	v_cvt_f32_i32_e32 v247, v247                               // 000000005F90: 7FEE0BF7
	v_pk_fma_f32 v[84:85], v[244:245], v[250:251], v[84:85]    // 000000005F94: D3B04054 1D53F5F4
	v_pk_fma_f32 v[86:87], v[246:247], v[250:251], v[86:87]    // 000000005F9C: D3B04056 1D5BF5F6
	v_mfma_i32_16x16x32_i8 v[244:247], a[144:145], v[224:225], 0// 000000005FA4: D3D700F4 0A03C190
	v_mfma_i32_16x16x32_i8 v[244:247], a[146:147], v[226:227], v[244:247]// 000000005FAC: D3D700F4 0FD3C592
	buffer_load_dwordx4 a[56:59], v39, s[24:27], 0 offen offset:2048// 000000005FB4: E05C1800 80863827
	v_mfma_i32_16x16x32_i8 v[244:247], a[148:149], v[228:229], v[244:247]// 000000005FBC: D3D700F4 0FD3C994
	v_mfma_i32_16x16x32_i8 v[244:247], a[150:151], v[230:231], v[244:247]// 000000005FC4: D3D700F4 0FD3CD96
	s_waitcnt lgkmcnt(0)                                       // 000000005FCC: BF8CC07F
	s_barrier                                                  // 000000005FD0: BF8A0000
	v_mfma_i32_16x16x32_i8 v[244:247], a[152:153], v[232:233], v[244:247]// 000000005FD4: D3D700F4 0FD3D198
	ds_read_b64 v[176:177], v13 offset:2048                    // 000000005FDC: D8EC0800 B000000D
	ds_read_b64 v[178:179], v13 offset:2176                    // 000000005FE4: D8EC0880 B200000D
	v_mfma_i32_16x16x32_i8 v[244:247], a[154:155], v[234:235], v[244:247]// 000000005FEC: D3D700F4 0FD3D59A
	buffer_load_dwordx4 a[60:63], v39, s[24:27], 0 offen offset:3072// 000000005FF4: E05C1C00 80863C27
	v_mfma_i32_16x16x32_i8 v[244:247], a[156:157], v[236:237], v[244:247]// 000000005FFC: D3D700F4 0FD3D99C
	ds_read_b64 v[180:181], v13 offset:3072                    // 000000006004: D8EC0C00 B400000D
	ds_read_b64 v[182:183], v13 offset:3200                    // 00000000600C: D8EC0C80 B600000D
	v_mfma_i32_16x16x32_i8 v[244:247], a[158:159], v[238:239], v[244:247]// 000000006014: D3D700F4 0FD3DD9E
	v_cvt_f32_i32_e32 v240, v240                               // 00000000601C: 7FE00BF0
	v_cvt_f32_i32_e32 v241, v241                               // 000000006020: 7FE20BF1
	v_cvt_f32_i32_e32 v242, v242                               // 000000006024: 7FE40BF2
	v_cvt_f32_i32_e32 v243, v243                               // 000000006028: 7FE60BF3
	v_pk_fma_f32 v[88:89], v[240:241], v[248:249], v[88:89]    // 00000000602C: D3B04058 1D63F1F0
	v_pk_fma_f32 v[90:91], v[242:243], v[248:249], v[90:91]    // 000000006034: D3B0405A 1D6BF1F2
	s_waitcnt vmcnt(20)                                        // 00000000603C: BF8C4F74
	v_mfma_i32_16x16x32_i8 v[240:243], a[160:161], v[208:209], 0// 000000006040: D3D700F0 0A03A1A0
	ds_read_b64 v[184:185], v13 offset:4096                    // 000000006048: D8EC1000 B800000D
	ds_read_b64 v[186:187], v13 offset:4224                    // 000000006050: D8EC1080 BA00000D
	v_mfma_i32_16x16x32_i8 v[240:243], a[162:163], v[210:211], v[240:243]// 000000006058: D3D700F0 0FC3A5A2
	buffer_load_dwordx4 a[64:67], v40, s[24:27], 0 offen       // 000000006060: E05C1000 80864028
	v_mfma_i32_16x16x32_i8 v[240:243], a[164:165], v[212:213], v[240:243]// 000000006068: D3D700F0 0FC3A9A4
	ds_read_b64 v[188:189], v13 offset:5120                    // 000000006070: D8EC1400 BC00000D
	ds_read_b64 v[190:191], v13 offset:5248                    // 000000006078: D8EC1480 BE00000D
	v_mfma_i32_16x16x32_i8 v[240:243], a[166:167], v[214:215], v[240:243]// 000000006080: D3D700F0 0FC3ADA6
	v_mfma_i32_16x16x32_i8 v[240:243], a[168:169], v[216:217], v[240:243]// 000000006088: D3D700F0 0FC3B1A8
	ds_read_b64 v[192:193], v13 offset:6144                    // 000000006090: D8EC1800 C000000D
	ds_read_b64 v[194:195], v13 offset:6272                    // 000000006098: D8EC1880 C200000D
	v_mfma_i32_16x16x32_i8 v[240:243], a[170:171], v[218:219], v[240:243]// 0000000060A0: D3D700F0 0FC3B5AA
	buffer_load_dwordx4 a[68:71], v40, s[24:27], 0 offen offset:1024// 0000000060A8: E05C1400 80864428
	v_mfma_i32_16x16x32_i8 v[240:243], a[172:173], v[220:221], v[240:243]// 0000000060B0: D3D700F0 0FC3B9AC
	ds_read_b64 v[196:197], v13 offset:7168                    // 0000000060B8: D8EC1C00 C400000D
	ds_read_b64 v[198:199], v13 offset:7296                    // 0000000060C0: D8EC1C80 C600000D
	v_mfma_i32_16x16x32_i8 v[240:243], a[174:175], v[222:223], v[240:243]// 0000000060C8: D3D700F0 0FC3BDAE
	v_cvt_f32_i32_e32 v244, v244                               // 0000000060D0: 7FE80BF4
	v_cvt_f32_i32_e32 v245, v245                               // 0000000060D4: 7FEA0BF5
	v_cvt_f32_i32_e32 v246, v246                               // 0000000060D8: 7FEC0BF6
	v_cvt_f32_i32_e32 v247, v247                               // 0000000060DC: 7FEE0BF7
	v_pk_fma_f32 v[92:93], v[244:245], v[250:251], v[92:93]    // 0000000060E0: D3B0405C 1D73F5F4
	v_pk_fma_f32 v[94:95], v[246:247], v[250:251], v[94:95]    // 0000000060E8: D3B0405E 1D7BF5F6
	v_mfma_i32_16x16x32_i8 v[244:247], a[160:161], v[224:225], 0// 0000000060F0: D3D700F4 0A03C1A0
	ds_read_b64 v[200:201], v13 offset:8192                    // 0000000060F8: D8EC2000 C800000D
	ds_read_b64 v[202:203], v13 offset:8320                    // 000000006100: D8EC2080 CA00000D
	v_mfma_i32_16x16x32_i8 v[244:247], a[162:163], v[226:227], v[244:247]// 000000006108: D3D700F4 0FD3C5A2
	buffer_load_dwordx4 a[72:75], v40, s[24:27], 0 offen offset:2048// 000000006110: E05C1800 80864828
	v_mfma_i32_16x16x32_i8 v[244:247], a[164:165], v[228:229], v[244:247]// 000000006118: D3D700F4 0FD3C9A4
	ds_read_b64 v[204:205], v13 offset:9216                    // 000000006120: D8EC2400 CC00000D
	ds_read_b64 v[206:207], v13 offset:9344                    // 000000006128: D8EC2480 CE00000D
	v_mfma_i32_16x16x32_i8 v[244:247], a[166:167], v[230:231], v[244:247]// 000000006130: D3D700F4 0FD3CDA6
	v_mfma_i32_16x16x32_i8 v[244:247], a[168:169], v[232:233], v[244:247]// 000000006138: D3D700F4 0FD3D1A8
	v_mfma_i32_16x16x32_i8 v[244:247], a[170:171], v[234:235], v[244:247]// 000000006140: D3D700F4 0FD3D5AA
	buffer_load_dwordx4 a[76:79], v40, s[24:27], 0 offen offset:3072// 000000006148: E05C1C00 80864C28
	v_mfma_i32_16x16x32_i8 v[244:247], a[172:173], v[236:237], v[244:247]// 000000006150: D3D700F4 0FD3D9AC
	v_mfma_i32_16x16x32_i8 v[244:247], a[174:175], v[238:239], v[244:247]// 000000006158: D3D700F4 0FD3DDAE
	v_cvt_f32_i32_e32 v240, v240                               // 000000006160: 7FE00BF0
	v_cvt_f32_i32_e32 v241, v241                               // 000000006164: 7FE20BF1
	v_cvt_f32_i32_e32 v242, v242                               // 000000006168: 7FE40BF2
	v_cvt_f32_i32_e32 v243, v243                               // 00000000616C: 7FE60BF3
	v_pk_fma_f32 v[96:97], v[240:241], v[248:249], v[96:97]    // 000000006170: D3B04060 1D83F1F0
	v_pk_fma_f32 v[98:99], v[242:243], v[248:249], v[98:99]    // 000000006178: D3B04062 1D8BF1F2
	s_waitcnt vmcnt(20)                                        // 000000006180: BF8C4F74
	v_mfma_i32_16x16x32_i8 v[240:243], a[176:177], v[208:209], 0// 000000006184: D3D700F0 0A03A1B0
	v_mfma_i32_16x16x32_i8 v[240:243], a[178:179], v[210:211], v[240:243]// 00000000618C: D3D700F0 0FC3A5B2
	buffer_load_dwordx4 a[80:83], v41, s[24:27], 0 offen       // 000000006194: E05C1000 80865029
	v_mfma_i32_16x16x32_i8 v[240:243], a[180:181], v[212:213], v[240:243]// 00000000619C: D3D700F0 0FC3A9B4
	v_mfma_i32_16x16x32_i8 v[240:243], a[182:183], v[214:215], v[240:243]// 0000000061A4: D3D700F0 0FC3ADB6
	v_mfma_i32_16x16x32_i8 v[240:243], a[184:185], v[216:217], v[240:243]// 0000000061AC: D3D700F0 0FC3B1B8
	v_mfma_i32_16x16x32_i8 v[240:243], a[186:187], v[218:219], v[240:243]// 0000000061B4: D3D700F0 0FC3B5BA
	buffer_load_dwordx4 a[84:87], v41, s[24:27], 0 offen offset:1024// 0000000061BC: E05C1400 80865429
	v_mfma_i32_16x16x32_i8 v[240:243], a[188:189], v[220:221], v[240:243]// 0000000061C4: D3D700F0 0FC3B9BC
	v_mfma_i32_16x16x32_i8 v[240:243], a[190:191], v[222:223], v[240:243]// 0000000061CC: D3D700F0 0FC3BDBE
	v_cvt_f32_i32_e32 v244, v244                               // 0000000061D4: 7FE80BF4
	v_cvt_f32_i32_e32 v245, v245                               // 0000000061D8: 7FEA0BF5
	v_cvt_f32_i32_e32 v246, v246                               // 0000000061DC: 7FEC0BF6
	v_cvt_f32_i32_e32 v247, v247                               // 0000000061E0: 7FEE0BF7
	v_pk_fma_f32 v[100:101], v[244:245], v[250:251], v[100:101]// 0000000061E4: D3B04064 1D93F5F4
	v_pk_fma_f32 v[102:103], v[246:247], v[250:251], v[102:103]// 0000000061EC: D3B04066 1D9BF5F6
	v_mfma_i32_16x16x32_i8 v[244:247], a[176:177], v[224:225], 0// 0000000061F4: D3D700F4 0A03C1B0
	v_mfma_i32_16x16x32_i8 v[244:247], a[178:179], v[226:227], v[244:247]// 0000000061FC: D3D700F4 0FD3C5B2
	buffer_load_dwordx4 a[88:91], v41, s[24:27], 0 offen offset:2048// 000000006204: E05C1800 80865829
	v_mfma_i32_16x16x32_i8 v[244:247], a[180:181], v[228:229], v[244:247]// 00000000620C: D3D700F4 0FD3C9B4
	v_mfma_i32_16x16x32_i8 v[244:247], a[182:183], v[230:231], v[244:247]// 000000006214: D3D700F4 0FD3CDB6
	v_mfma_i32_16x16x32_i8 v[244:247], a[184:185], v[232:233], v[244:247]// 00000000621C: D3D700F4 0FD3D1B8
	v_mfma_i32_16x16x32_i8 v[244:247], a[186:187], v[234:235], v[244:247]// 000000006224: D3D700F4 0FD3D5BA
	buffer_load_dwordx4 a[92:95], v41, s[24:27], 0 offen offset:3072// 00000000622C: E05C1C00 80865C29
	v_mfma_i32_16x16x32_i8 v[244:247], a[188:189], v[236:237], v[244:247]// 000000006234: D3D700F4 0FD3D9BC
	v_mfma_i32_16x16x32_i8 v[244:247], a[190:191], v[238:239], v[244:247]// 00000000623C: D3D700F4 0FD3DDBE
	v_cvt_f32_i32_e32 v240, v240                               // 000000006244: 7FE00BF0
	v_cvt_f32_i32_e32 v241, v241                               // 000000006248: 7FE20BF1
	v_cvt_f32_i32_e32 v242, v242                               // 00000000624C: 7FE40BF2
	v_cvt_f32_i32_e32 v243, v243                               // 000000006250: 7FE60BF3
	v_pk_fma_f32 v[104:105], v[240:241], v[248:249], v[104:105]// 000000006254: D3B04068 1DA3F1F0
	v_pk_fma_f32 v[106:107], v[242:243], v[248:249], v[106:107]// 00000000625C: D3B0406A 1DABF1F2
	v_cvt_f32_i32_e32 v244, v244                               // 000000006264: 7FE80BF4
	v_cvt_f32_i32_e32 v245, v245                               // 000000006268: 7FEA0BF5
	v_cvt_f32_i32_e32 v246, v246                               // 00000000626C: 7FEC0BF6
	v_cvt_f32_i32_e32 v247, v247                               // 000000006270: 7FEE0BF7
	v_pk_fma_f32 v[108:109], v[244:245], v[250:251], v[108:109]// 000000006274: D3B0406C 1DB3F5F4
	v_pk_fma_f32 v[110:111], v[246:247], v[250:251], v[110:111]// 00000000627C: D3B0406E 1DBBF5F6
	s_add_u32 s60, 0x200, s80                                  // 000000006284: 803C50FF 00000200
	s_cmp_lt_u32 s60, s81                                      // 00000000628C: BF0A513C
	s_cselect_b32 s57, s57, 0                                  // 000000006290: 85398039
	s_cselect_b32 s91, s91, 0                                  // 000000006294: 855B805B
	s_add_u32 s60, 0x200, s80                                  // 000000006298: 803C50FF 00000200
	s_cmp_lt_u32 s60, s81                                      // 0000000062A0: BF0A513C
	s_cselect_b32 s58, s58, 0                                  // 0000000062A4: 853A803A
	s_add_u32 s20, s57, s20                                    // 0000000062A8: 80141439
	s_addc_u32 s21, 0, s21                                     // 0000000062AC: 82151580
	s_add_u32 s28, s91, s28                                    // 0000000062B0: 801C1C5B
	s_addc_u32 s29, 0, s29                                     // 0000000062B4: 821D1D80
	s_add_u32 s24, s58, s24                                    // 0000000062B8: 8018183A
	s_addc_u32 s25, 0, s25                                     // 0000000062BC: 82191980
	s_add_u32 s92, s90, s92                                    // 0000000062C0: 805C5C5A
	s_addc_u32 s93, 0, s93                                     // 0000000062C4: 825D5D80
	s_addk_i32 s80, 0x100                                      // 0000000062C8: B7500100
	s_cmp_lt_i32 s80, s81                                      // 0000000062CC: BF045150
	s_cbranch_scc0 label_0D36                                  // 0000000062D0: BF840001
	s_branch label_040D                                        // 0000000062D4: BF82F6D7

00000000000062d8 <label_0D36>:
	s_mov_b32 s20, 0                                           // 0000000062D8: BE940080
	s_cmp_lt_u32 s89, s66                                      // 0000000062DC: BF0A4259
	s_cselect_b32 s60, 0, 1                                    // 0000000062E0: 853C8180
	s_lshl1_add_u32 s20, s20, s60                              // 0000000062E4: 97143C14
	s_cmp_lt_u32 s88, s66                                      // 0000000062E8: BF0A4258
	s_cselect_b32 s60, 0, 1                                    // 0000000062EC: 853C8180
	s_lshl1_add_u32 s20, s20, s60                              // 0000000062F0: 97143C14
	s_cmp_lt_u32 s87, s66                                      // 0000000062F4: BF0A4257
	s_cselect_b32 s60, 0, 1                                    // 0000000062F8: 853C8180
	s_lshl1_add_u32 s20, s20, s60                              // 0000000062FC: 97143C14
	s_cmp_lt_u32 s86, s66                                      // 000000006300: BF0A4256
	s_cselect_b32 s60, 0, 1                                    // 000000006304: 853C8180
	s_lshl1_add_u32 s20, s20, s60                              // 000000006308: 97143C14
	s_cmp_lt_u32 s85, s66                                      // 00000000630C: BF0A4255
	s_cselect_b32 s60, 0, 1                                    // 000000006310: 853C8180
	s_lshl1_add_u32 s20, s20, s60                              // 000000006314: 97143C14
	s_cmp_lt_u32 s84, s66                                      // 000000006318: BF0A4254
	s_cselect_b32 s60, 0, 1                                    // 00000000631C: 853C8180
	s_lshl1_add_u32 s20, s20, s60                              // 000000006320: 97143C14
	s_cmp_lt_u32 s83, s66                                      // 000000006324: BF0A4253
	s_cselect_b32 s60, 0, 1                                    // 000000006328: 853C8180
	s_lshl1_add_u32 s20, s20, s60                              // 00000000632C: 97143C14
	s_cmp_lt_u32 s82, s66                                      // 000000006330: BF0A4252
	s_cselect_b32 s60, 0, 1                                    // 000000006334: 853C8180
	s_lshl1_add_u32 s20, s20, s60                              // 000000006338: 97143C14
	v_mov_b32_e32 v54, 0xbfcc4231                              // 00000000633C: 7E6C02FF BFCC4231
	v_mov_b32_e32 v55, 0xbfcc4231                              // 000000006344: 7E6E02FF BFCC4231
	v_mov_b32_e32 v51, 0xffff0000                              // 00000000634C: 7E6602FF FFFF0000
	v_mov_b32_e32 v52, 0x7fff0000                              // 000000006354: 7E6802FF 7FFF0000
	v_mov_b32_e32 v53, 0x7fff                                  // 00000000635C: 7E6A02FF 00007FFF
	s_mul_i32 s60, s5, 16                                      // 000000006364: 923C9005
	s_mul_i32 s60, s60, s70                                    // 000000006368: 923C463C
	v_lshlrev_b32_e32 v46, 4, v0                               // 00000000636C: 245C0084
	v_add_u32_e32 v46, s60, v46                                // 000000006370: 685C5C3C
	s_mul_i32 s60, 64, s70                                     // 000000006374: 923C46C0
	v_add_u32_e32 v47, s60, v46                                // 000000006378: 685E5C3C
	v_add_u32_e32 v48, s60, v47                                // 00000000637C: 68605E3C
	v_add_u32_e32 v49, s60, v48                                // 000000006380: 6862603C
	v_lshrrev_b32_e32 v42, 4, v0                               // 000000006384: 20540084
	v_mul_i32_i24_e32 v3, 34, v42                              // 000000006388: 0C0654A2
	v_and_b32_e32 v42, 15, v0                                  // 00000000638C: 2654008F
	v_mul_i32_i24_e32 v43, 2, v42                              // 000000006390: 0C565482
	v_add_u32_e32 v3, v43, v3                                  // 000000006394: 6806072B
	s_mul_i32 s60, s5, 0x88                                    // 000000006398: 923CFF05 00000088
	v_add_u32_e32 v3, s60, v3                                  // 0000000063A0: 6806063C
	v_lshlrev_b32_e32 v3, 2, v3                                // 0000000063A4: 24060682
	v_lshrrev_b32_e32 v42, 1, v0                               // 0000000063A8: 20540081
	v_mul_i32_i24_e32 v4, 34, v42                              // 0000000063AC: 0C0854A2
	v_and_b32_e32 v43, 1, v0                                   // 0000000063B0: 26560081
	v_add_u32_e32 v4, v43, v4                                  // 0000000063B4: 6808092B
	s_mul_i32 s60, s5, 2                                       // 0000000063B8: 923C8205
	v_add_u32_e32 v4, s60, v4                                  // 0000000063BC: 6808083C
	v_lshlrev_b32_e32 v4, 2, v4                                // 0000000063C0: 24080882
	v_mul_f32_dpp v128, v16, v128 row_newbcast:0 row_mask:0xf bank_mask:0xf// 0000000063C4: 0B0100FA FF015010
	v_mul_f32_dpp v129, v16, v129 row_newbcast:1 row_mask:0xf bank_mask:0xf// 0000000063CC: 0B0302FA FF015110
	v_mul_f32_dpp v130, v16, v130 row_newbcast:2 row_mask:0xf bank_mask:0xf// 0000000063D4: 0B0504FA FF015210
	v_mul_f32_dpp v131, v16, v131 row_newbcast:3 row_mask:0xf bank_mask:0xf// 0000000063DC: 0B0706FA FF015310
	v_mul_f32_dpp v132, v16, v132 row_newbcast:0 row_mask:0xf bank_mask:0xf// 0000000063E4: 0B0908FA FF015010
	v_mul_f32_dpp v133, v16, v133 row_newbcast:1 row_mask:0xf bank_mask:0xf// 0000000063EC: 0B0B0AFA FF015110
	v_mul_f32_dpp v134, v16, v134 row_newbcast:2 row_mask:0xf bank_mask:0xf// 0000000063F4: 0B0D0CFA FF015210
	v_mul_f32_dpp v135, v16, v135 row_newbcast:3 row_mask:0xf bank_mask:0xf// 0000000063FC: 0B0F0EFA FF015310
	v_mul_f32_dpp v136, v16, v136 row_newbcast:4 row_mask:0xf bank_mask:0xf// 000000006404: 0B1110FA FF015410
	v_mul_f32_dpp v137, v16, v137 row_newbcast:5 row_mask:0xf bank_mask:0xf// 00000000640C: 0B1312FA FF015510
	v_mul_f32_dpp v138, v16, v138 row_newbcast:6 row_mask:0xf bank_mask:0xf// 000000006414: 0B1514FA FF015610
	v_mul_f32_dpp v139, v16, v139 row_newbcast:7 row_mask:0xf bank_mask:0xf// 00000000641C: 0B1716FA FF015710
	v_mul_f32_dpp v140, v16, v140 row_newbcast:4 row_mask:0xf bank_mask:0xf// 000000006424: 0B1918FA FF015410
	v_mul_f32_dpp v141, v16, v141 row_newbcast:5 row_mask:0xf bank_mask:0xf// 00000000642C: 0B1B1AFA FF015510
	v_mul_f32_dpp v142, v16, v142 row_newbcast:6 row_mask:0xf bank_mask:0xf// 000000006434: 0B1D1CFA FF015610
	v_mul_f32_dpp v143, v16, v143 row_newbcast:7 row_mask:0xf bank_mask:0xf// 00000000643C: 0B1F1EFA FF015710
	v_mul_f32_dpp v144, v16, v144 row_newbcast:8 row_mask:0xf bank_mask:0xf// 000000006444: 0B2120FA FF015810
	v_mul_f32_dpp v145, v16, v145 row_newbcast:9 row_mask:0xf bank_mask:0xf// 00000000644C: 0B2322FA FF015910
	v_mul_f32_dpp v146, v16, v146 row_newbcast:10 row_mask:0xf bank_mask:0xf// 000000006454: 0B2524FA FF015A10
	v_mul_f32_dpp v147, v16, v147 row_newbcast:11 row_mask:0xf bank_mask:0xf// 00000000645C: 0B2726FA FF015B10
	v_mul_f32_dpp v148, v16, v148 row_newbcast:8 row_mask:0xf bank_mask:0xf// 000000006464: 0B2928FA FF015810
	v_mul_f32_dpp v149, v16, v149 row_newbcast:9 row_mask:0xf bank_mask:0xf// 00000000646C: 0B2B2AFA FF015910
	v_mul_f32_dpp v150, v16, v150 row_newbcast:10 row_mask:0xf bank_mask:0xf// 000000006474: 0B2D2CFA FF015A10
	v_mul_f32_dpp v151, v16, v151 row_newbcast:11 row_mask:0xf bank_mask:0xf// 00000000647C: 0B2F2EFA FF015B10
	v_mul_f32_dpp v152, v16, v152 row_newbcast:12 row_mask:0xf bank_mask:0xf// 000000006484: 0B3130FA FF015C10
	v_mul_f32_dpp v153, v16, v153 row_newbcast:13 row_mask:0xf bank_mask:0xf// 00000000648C: 0B3332FA FF015D10
	v_mul_f32_dpp v154, v16, v154 row_newbcast:14 row_mask:0xf bank_mask:0xf// 000000006494: 0B3534FA FF015E10
	v_mul_f32_dpp v155, v16, v155 row_newbcast:15 row_mask:0xf bank_mask:0xf// 00000000649C: 0B3736FA FF015F10
	v_mul_f32_dpp v156, v16, v156 row_newbcast:12 row_mask:0xf bank_mask:0xf// 0000000064A4: 0B3938FA FF015C10
	v_mul_f32_dpp v157, v16, v157 row_newbcast:13 row_mask:0xf bank_mask:0xf// 0000000064AC: 0B3B3AFA FF015D10
	v_mul_f32_dpp v158, v16, v158 row_newbcast:14 row_mask:0xf bank_mask:0xf// 0000000064B4: 0B3D3CFA FF015E10
	v_mul_f32_dpp v159, v16, v159 row_newbcast:15 row_mask:0xf bank_mask:0xf// 0000000064BC: 0B3F3EFA FF015F10
	v_mul_f32_dpp v160, v17, v160 row_newbcast:0 row_mask:0xf bank_mask:0xf// 0000000064C4: 0B4140FA FF015011
	v_mul_f32_dpp v161, v17, v161 row_newbcast:1 row_mask:0xf bank_mask:0xf// 0000000064CC: 0B4342FA FF015111
	v_mul_f32_dpp v162, v17, v162 row_newbcast:2 row_mask:0xf bank_mask:0xf// 0000000064D4: 0B4544FA FF015211
	v_mul_f32_dpp v163, v17, v163 row_newbcast:3 row_mask:0xf bank_mask:0xf// 0000000064DC: 0B4746FA FF015311
	v_mul_f32_dpp v164, v17, v164 row_newbcast:0 row_mask:0xf bank_mask:0xf// 0000000064E4: 0B4948FA FF015011
	v_mul_f32_dpp v165, v17, v165 row_newbcast:1 row_mask:0xf bank_mask:0xf// 0000000064EC: 0B4B4AFA FF015111
	v_mul_f32_dpp v166, v17, v166 row_newbcast:2 row_mask:0xf bank_mask:0xf// 0000000064F4: 0B4D4CFA FF015211
	v_mul_f32_dpp v167, v17, v167 row_newbcast:3 row_mask:0xf bank_mask:0xf// 0000000064FC: 0B4F4EFA FF015311
	v_mul_f32_dpp v168, v17, v168 row_newbcast:4 row_mask:0xf bank_mask:0xf// 000000006504: 0B5150FA FF015411
	v_mul_f32_dpp v169, v17, v169 row_newbcast:5 row_mask:0xf bank_mask:0xf// 00000000650C: 0B5352FA FF015511
	v_mul_f32_dpp v170, v17, v170 row_newbcast:6 row_mask:0xf bank_mask:0xf// 000000006514: 0B5554FA FF015611
	v_mul_f32_dpp v171, v17, v171 row_newbcast:7 row_mask:0xf bank_mask:0xf// 00000000651C: 0B5756FA FF015711
	v_mul_f32_dpp v172, v17, v172 row_newbcast:4 row_mask:0xf bank_mask:0xf// 000000006524: 0B5958FA FF015411
	v_mul_f32_dpp v173, v17, v173 row_newbcast:5 row_mask:0xf bank_mask:0xf// 00000000652C: 0B5B5AFA FF015511
	v_mul_f32_dpp v174, v17, v174 row_newbcast:6 row_mask:0xf bank_mask:0xf// 000000006534: 0B5D5CFA FF015611
	v_mul_f32_dpp v175, v17, v175 row_newbcast:7 row_mask:0xf bank_mask:0xf// 00000000653C: 0B5F5EFA FF015711
	v_mul_f32_dpp v64, v8, v64 row_newbcast:0 row_mask:0xf bank_mask:0xf// 000000006544: 0A8080FA FF015008
	v_mul_f32_dpp v65, v8, v65 row_newbcast:1 row_mask:0xf bank_mask:0xf// 00000000654C: 0A8282FA FF015108
	v_mul_f32_dpp v66, v8, v66 row_newbcast:2 row_mask:0xf bank_mask:0xf// 000000006554: 0A8484FA FF015208
	v_mul_f32_dpp v67, v8, v67 row_newbcast:3 row_mask:0xf bank_mask:0xf// 00000000655C: 0A8686FA FF015308
	v_mul_f32_dpp v68, v8, v68 row_newbcast:0 row_mask:0xf bank_mask:0xf// 000000006564: 0A8888FA FF015008
	v_mul_f32_dpp v69, v8, v69 row_newbcast:1 row_mask:0xf bank_mask:0xf// 00000000656C: 0A8A8AFA FF015108
	v_mul_f32_dpp v70, v8, v70 row_newbcast:2 row_mask:0xf bank_mask:0xf// 000000006574: 0A8C8CFA FF015208
	v_mul_f32_dpp v71, v8, v71 row_newbcast:3 row_mask:0xf bank_mask:0xf// 00000000657C: 0A8E8EFA FF015308
	v_mul_f32_dpp v72, v8, v72 row_newbcast:4 row_mask:0xf bank_mask:0xf// 000000006584: 0A9090FA FF015408
	v_mul_f32_dpp v73, v8, v73 row_newbcast:5 row_mask:0xf bank_mask:0xf// 00000000658C: 0A9292FA FF015508
	v_mul_f32_dpp v74, v8, v74 row_newbcast:6 row_mask:0xf bank_mask:0xf// 000000006594: 0A9494FA FF015608
	v_mul_f32_dpp v75, v8, v75 row_newbcast:7 row_mask:0xf bank_mask:0xf// 00000000659C: 0A9696FA FF015708
	v_mul_f32_dpp v76, v8, v76 row_newbcast:4 row_mask:0xf bank_mask:0xf// 0000000065A4: 0A9898FA FF015408
	v_mul_f32_dpp v77, v8, v77 row_newbcast:5 row_mask:0xf bank_mask:0xf// 0000000065AC: 0A9A9AFA FF015508
	v_mul_f32_dpp v78, v8, v78 row_newbcast:6 row_mask:0xf bank_mask:0xf// 0000000065B4: 0A9C9CFA FF015608
	v_mul_f32_dpp v79, v8, v79 row_newbcast:7 row_mask:0xf bank_mask:0xf// 0000000065BC: 0A9E9EFA FF015708
	v_mul_f32_dpp v80, v8, v80 row_newbcast:8 row_mask:0xf bank_mask:0xf// 0000000065C4: 0AA0A0FA FF015808
	v_mul_f32_dpp v81, v8, v81 row_newbcast:9 row_mask:0xf bank_mask:0xf// 0000000065CC: 0AA2A2FA FF015908
	v_mul_f32_dpp v82, v8, v82 row_newbcast:10 row_mask:0xf bank_mask:0xf// 0000000065D4: 0AA4A4FA FF015A08
	v_mul_f32_dpp v83, v8, v83 row_newbcast:11 row_mask:0xf bank_mask:0xf// 0000000065DC: 0AA6A6FA FF015B08
	v_mul_f32_dpp v84, v8, v84 row_newbcast:8 row_mask:0xf bank_mask:0xf// 0000000065E4: 0AA8A8FA FF015808
	v_mul_f32_dpp v85, v8, v85 row_newbcast:9 row_mask:0xf bank_mask:0xf// 0000000065EC: 0AAAAAFA FF015908
	v_mul_f32_dpp v86, v8, v86 row_newbcast:10 row_mask:0xf bank_mask:0xf// 0000000065F4: 0AACACFA FF015A08
	v_mul_f32_dpp v87, v8, v87 row_newbcast:11 row_mask:0xf bank_mask:0xf// 0000000065FC: 0AAEAEFA FF015B08
	v_mul_f32_dpp v88, v8, v88 row_newbcast:12 row_mask:0xf bank_mask:0xf// 000000006604: 0AB0B0FA FF015C08
	v_mul_f32_dpp v89, v8, v89 row_newbcast:13 row_mask:0xf bank_mask:0xf// 00000000660C: 0AB2B2FA FF015D08
	v_mul_f32_dpp v90, v8, v90 row_newbcast:14 row_mask:0xf bank_mask:0xf// 000000006614: 0AB4B4FA FF015E08
	v_mul_f32_dpp v91, v8, v91 row_newbcast:15 row_mask:0xf bank_mask:0xf// 00000000661C: 0AB6B6FA FF015F08
	v_mul_f32_dpp v92, v8, v92 row_newbcast:12 row_mask:0xf bank_mask:0xf// 000000006624: 0AB8B8FA FF015C08
	v_mul_f32_dpp v93, v8, v93 row_newbcast:13 row_mask:0xf bank_mask:0xf// 00000000662C: 0ABABAFA FF015D08
	v_mul_f32_dpp v94, v8, v94 row_newbcast:14 row_mask:0xf bank_mask:0xf// 000000006634: 0ABCBCFA FF015E08
	v_mul_f32_dpp v95, v8, v95 row_newbcast:15 row_mask:0xf bank_mask:0xf// 00000000663C: 0ABEBEFA FF015F08
	v_mul_f32_dpp v96, v9, v96 row_newbcast:0 row_mask:0xf bank_mask:0xf// 000000006644: 0AC0C0FA FF015009
	v_mul_f32_dpp v97, v9, v97 row_newbcast:1 row_mask:0xf bank_mask:0xf// 00000000664C: 0AC2C2FA FF015109
	v_mul_f32_dpp v98, v9, v98 row_newbcast:2 row_mask:0xf bank_mask:0xf// 000000006654: 0AC4C4FA FF015209
	v_mul_f32_dpp v99, v9, v99 row_newbcast:3 row_mask:0xf bank_mask:0xf// 00000000665C: 0AC6C6FA FF015309
	v_mul_f32_dpp v100, v9, v100 row_newbcast:0 row_mask:0xf bank_mask:0xf// 000000006664: 0AC8C8FA FF015009
	v_mul_f32_dpp v101, v9, v101 row_newbcast:1 row_mask:0xf bank_mask:0xf// 00000000666C: 0ACACAFA FF015109
	v_mul_f32_dpp v102, v9, v102 row_newbcast:2 row_mask:0xf bank_mask:0xf// 000000006674: 0ACCCCFA FF015209
	v_mul_f32_dpp v103, v9, v103 row_newbcast:3 row_mask:0xf bank_mask:0xf// 00000000667C: 0ACECEFA FF015309
	v_mul_f32_dpp v104, v9, v104 row_newbcast:4 row_mask:0xf bank_mask:0xf// 000000006684: 0AD0D0FA FF015409
	v_mul_f32_dpp v105, v9, v105 row_newbcast:5 row_mask:0xf bank_mask:0xf// 00000000668C: 0AD2D2FA FF015509
	v_mul_f32_dpp v106, v9, v106 row_newbcast:6 row_mask:0xf bank_mask:0xf// 000000006694: 0AD4D4FA FF015609
	v_mul_f32_dpp v107, v9, v107 row_newbcast:7 row_mask:0xf bank_mask:0xf// 00000000669C: 0AD6D6FA FF015709
	v_mul_f32_dpp v108, v9, v108 row_newbcast:4 row_mask:0xf bank_mask:0xf// 0000000066A4: 0AD8D8FA FF015409
	v_mul_f32_dpp v109, v9, v109 row_newbcast:5 row_mask:0xf bank_mask:0xf// 0000000066AC: 0ADADAFA FF015509
	v_mul_f32_dpp v110, v9, v110 row_newbcast:6 row_mask:0xf bank_mask:0xf// 0000000066B4: 0ADCDCFA FF015609
	v_mul_f32_dpp v111, v9, v111 row_newbcast:7 row_mask:0xf bank_mask:0xf// 0000000066BC: 0ADEDEFA FF015709
	s_waitcnt vmcnt(20)                                        // 0000000066C4: BF8C4F74
	buffer_load_dwordx4 a[0:3], v46, s[12:15], 0 offen         // 0000000066C8: E05C1000 8083002E
	v_mul_f32_e64 v42, -v128, s6                               // 0000000066D0: D105002A 20000D80
	v_mul_f32_e64 v43, -v129, s6                               // 0000000066D8: D105002B 20000D81
	v_mul_f32_e64 v44, -v130, s6                               // 0000000066E0: D105002C 20000D82
	v_mul_f32_e64 v45, -v131, s6                               // 0000000066E8: D105002D 20000D83
	v_exp_f32_e32 v42, v42                                     // 0000000066F0: 7E54412A
	v_exp_f32_e32 v43, v43                                     // 0000000066F4: 7E56412B
	v_exp_f32_e32 v44, v44                                     // 0000000066F8: 7E58412C
	v_exp_f32_e32 v45, v45                                     // 0000000066FC: 7E5A412D
	buffer_load_dwordx4 a[4:7], v47, s[12:15], 0 offen         // 000000006700: E05C1000 8083042F
	v_add_f32_e64 v42, v42, 1.0                                // 000000006708: D101002A 0001E52A
	v_add_f32_e64 v43, v43, 1.0                                // 000000006710: D101002B 0001E52B
	v_add_f32_e64 v44, v44, 1.0                                // 000000006718: D101002C 0001E52C
	v_add_f32_e64 v45, v45, 1.0                                // 000000006720: D101002D 0001E52D
	v_rcp_f32_e32 v42, v42                                     // 000000006728: 7E54452A
	v_rcp_f32_e32 v43, v43                                     // 00000000672C: 7E56452B
	v_rcp_f32_e32 v44, v44                                     // 000000006730: 7E58452C
	v_rcp_f32_e32 v45, v45                                     // 000000006734: 7E5A452D
	v_pk_mul_f32 v[128:129], v[128:129], v[42:43]              // 000000006738: D3B14080 18025580
	v_pk_mul_f32 v[130:131], v[130:131], v[44:45]              // 000000006740: D3B14082 18025982
	v_pk_mul_f32 v[128:129], v[128:129], v[64:65]              // 000000006748: D3B14080 18028180
	v_pk_mul_f32 v[130:131], v[130:131], v[66:67]              // 000000006750: D3B14082 18028582
	buffer_load_dwordx4 a[8:11], v48, s[12:15], 0 offen        // 000000006758: E05C1000 80830830
	v_mul_f32_e64 v42, -v132, s6                               // 000000006760: D105002A 20000D84
	v_mul_f32_e64 v43, -v133, s6                               // 000000006768: D105002B 20000D85
	v_mul_f32_e64 v44, -v134, s6                               // 000000006770: D105002C 20000D86
	v_mul_f32_e64 v45, -v135, s6                               // 000000006778: D105002D 20000D87
	v_exp_f32_e32 v42, v42                                     // 000000006780: 7E54412A
	v_exp_f32_e32 v43, v43                                     // 000000006784: 7E56412B
	v_exp_f32_e32 v44, v44                                     // 000000006788: 7E58412C
	v_exp_f32_e32 v45, v45                                     // 00000000678C: 7E5A412D
	buffer_load_dwordx4 a[12:15], v49, s[12:15], 0 offen       // 000000006790: E05C1000 80830C31
	s_add_u32 s12, s78, s12                                    // 000000006798: 800C0C4E
	s_addc_u32 s13, 0, s13                                     // 00000000679C: 820D0D80
	v_add_f32_e64 v42, v42, 1.0                                // 0000000067A0: D101002A 0001E52A
	v_add_f32_e64 v43, v43, 1.0                                // 0000000067A8: D101002B 0001E52B
	v_add_f32_e64 v44, v44, 1.0                                // 0000000067B0: D101002C 0001E52C
	v_add_f32_e64 v45, v45, 1.0                                // 0000000067B8: D101002D 0001E52D
	v_rcp_f32_e32 v42, v42                                     // 0000000067C0: 7E54452A
	v_rcp_f32_e32 v43, v43                                     // 0000000067C4: 7E56452B
	v_rcp_f32_e32 v44, v44                                     // 0000000067C8: 7E58452C
	v_rcp_f32_e32 v45, v45                                     // 0000000067CC: 7E5A452D
	v_pk_mul_f32 v[132:133], v[132:133], v[42:43]              // 0000000067D0: D3B14084 18025584
	v_pk_mul_f32 v[134:135], v[134:135], v[44:45]              // 0000000067D8: D3B14086 18025986
	v_pk_mul_f32 v[132:133], v[132:133], v[68:69]              // 0000000067E0: D3B14084 18028984
	v_pk_mul_f32 v[134:135], v[134:135], v[70:71]              // 0000000067E8: D3B14086 18028D86
	s_waitcnt vmcnt(20)                                        // 0000000067F0: BF8C4F74
	buffer_load_dwordx4 a[16:19], v46, s[12:15], 0 offen       // 0000000067F4: E05C1000 8083102E
	v_mul_f32_e64 v42, -v136, s6                               // 0000000067FC: D105002A 20000D88
	v_mul_f32_e64 v43, -v137, s6                               // 000000006804: D105002B 20000D89
	v_mul_f32_e64 v44, -v138, s6                               // 00000000680C: D105002C 20000D8A
	v_mul_f32_e64 v45, -v139, s6                               // 000000006814: D105002D 20000D8B
	v_exp_f32_e32 v42, v42                                     // 00000000681C: 7E54412A
	v_exp_f32_e32 v43, v43                                     // 000000006820: 7E56412B
	v_exp_f32_e32 v44, v44                                     // 000000006824: 7E58412C
	v_exp_f32_e32 v45, v45                                     // 000000006828: 7E5A412D
	buffer_load_dwordx4 a[20:23], v47, s[12:15], 0 offen       // 00000000682C: E05C1000 8083142F
	v_add_f32_e64 v42, v42, 1.0                                // 000000006834: D101002A 0001E52A
	v_add_f32_e64 v43, v43, 1.0                                // 00000000683C: D101002B 0001E52B
	v_add_f32_e64 v44, v44, 1.0                                // 000000006844: D101002C 0001E52C
	v_add_f32_e64 v45, v45, 1.0                                // 00000000684C: D101002D 0001E52D
	v_rcp_f32_e32 v42, v42                                     // 000000006854: 7E54452A
	v_rcp_f32_e32 v43, v43                                     // 000000006858: 7E56452B
	v_rcp_f32_e32 v44, v44                                     // 00000000685C: 7E58452C
	v_rcp_f32_e32 v45, v45                                     // 000000006860: 7E5A452D
	v_pk_mul_f32 v[136:137], v[136:137], v[42:43]              // 000000006864: D3B14088 18025588
	v_pk_mul_f32 v[138:139], v[138:139], v[44:45]              // 00000000686C: D3B1408A 1802598A
	v_pk_mul_f32 v[136:137], v[136:137], v[72:73]              // 000000006874: D3B14088 18029188
	v_pk_mul_f32 v[138:139], v[138:139], v[74:75]              // 00000000687C: D3B1408A 1802958A
	buffer_load_dwordx4 a[24:27], v48, s[12:15], 0 offen       // 000000006884: E05C1000 80831830
	v_mul_f32_e64 v42, -v140, s6                               // 00000000688C: D105002A 20000D8C
	v_mul_f32_e64 v43, -v141, s6                               // 000000006894: D105002B 20000D8D
	v_mul_f32_e64 v44, -v142, s6                               // 00000000689C: D105002C 20000D8E
	v_mul_f32_e64 v45, -v143, s6                               // 0000000068A4: D105002D 20000D8F
	v_exp_f32_e32 v42, v42                                     // 0000000068AC: 7E54412A
	v_exp_f32_e32 v43, v43                                     // 0000000068B0: 7E56412B
	v_exp_f32_e32 v44, v44                                     // 0000000068B4: 7E58412C
	v_exp_f32_e32 v45, v45                                     // 0000000068B8: 7E5A412D
	buffer_load_dwordx4 a[28:31], v49, s[12:15], 0 offen       // 0000000068BC: E05C1000 80831C31
	s_add_u32 s12, s78, s12                                    // 0000000068C4: 800C0C4E
	s_addc_u32 s13, 0, s13                                     // 0000000068C8: 820D0D80
	v_add_f32_e64 v42, v42, 1.0                                // 0000000068CC: D101002A 0001E52A
	v_add_f32_e64 v43, v43, 1.0                                // 0000000068D4: D101002B 0001E52B
	v_add_f32_e64 v44, v44, 1.0                                // 0000000068DC: D101002C 0001E52C
	v_add_f32_e64 v45, v45, 1.0                                // 0000000068E4: D101002D 0001E52D
	v_rcp_f32_e32 v42, v42                                     // 0000000068EC: 7E54452A
	v_rcp_f32_e32 v43, v43                                     // 0000000068F0: 7E56452B
	v_rcp_f32_e32 v44, v44                                     // 0000000068F4: 7E58452C
	v_rcp_f32_e32 v45, v45                                     // 0000000068F8: 7E5A452D
	v_pk_mul_f32 v[140:141], v[140:141], v[42:43]              // 0000000068FC: D3B1408C 1802558C
	v_pk_mul_f32 v[142:143], v[142:143], v[44:45]              // 000000006904: D3B1408E 1802598E
	v_pk_mul_f32 v[140:141], v[140:141], v[76:77]              // 00000000690C: D3B1408C 1802998C
	v_pk_mul_f32 v[142:143], v[142:143], v[78:79]              // 000000006914: D3B1408E 18029D8E
	s_waitcnt vmcnt(20)                                        // 00000000691C: BF8C4F74
	buffer_load_dwordx4 a[32:35], v46, s[12:15], 0 offen       // 000000006920: E05C1000 8083202E
	v_mul_f32_e64 v42, -v144, s6                               // 000000006928: D105002A 20000D90
	v_mul_f32_e64 v43, -v145, s6                               // 000000006930: D105002B 20000D91
	v_mul_f32_e64 v44, -v146, s6                               // 000000006938: D105002C 20000D92
	v_mul_f32_e64 v45, -v147, s6                               // 000000006940: D105002D 20000D93
	v_exp_f32_e32 v42, v42                                     // 000000006948: 7E54412A
	v_exp_f32_e32 v43, v43                                     // 00000000694C: 7E56412B
	v_exp_f32_e32 v44, v44                                     // 000000006950: 7E58412C
	v_exp_f32_e32 v45, v45                                     // 000000006954: 7E5A412D
	buffer_load_dwordx4 a[36:39], v47, s[12:15], 0 offen       // 000000006958: E05C1000 8083242F
	v_add_f32_e64 v42, v42, 1.0                                // 000000006960: D101002A 0001E52A
	v_add_f32_e64 v43, v43, 1.0                                // 000000006968: D101002B 0001E52B
	v_add_f32_e64 v44, v44, 1.0                                // 000000006970: D101002C 0001E52C
	v_add_f32_e64 v45, v45, 1.0                                // 000000006978: D101002D 0001E52D
	v_rcp_f32_e32 v42, v42                                     // 000000006980: 7E54452A
	v_rcp_f32_e32 v43, v43                                     // 000000006984: 7E56452B
	v_rcp_f32_e32 v44, v44                                     // 000000006988: 7E58452C
	v_rcp_f32_e32 v45, v45                                     // 00000000698C: 7E5A452D
	v_pk_mul_f32 v[144:145], v[144:145], v[42:43]              // 000000006990: D3B14090 18025590
	v_pk_mul_f32 v[146:147], v[146:147], v[44:45]              // 000000006998: D3B14092 18025992
	v_pk_mul_f32 v[144:145], v[144:145], v[80:81]              // 0000000069A0: D3B14090 1802A190
	v_pk_mul_f32 v[146:147], v[146:147], v[82:83]              // 0000000069A8: D3B14092 1802A592
	buffer_load_dwordx4 a[40:43], v48, s[12:15], 0 offen       // 0000000069B0: E05C1000 80832830
	v_mul_f32_e64 v42, -v148, s6                               // 0000000069B8: D105002A 20000D94
	v_mul_f32_e64 v43, -v149, s6                               // 0000000069C0: D105002B 20000D95
	v_mul_f32_e64 v44, -v150, s6                               // 0000000069C8: D105002C 20000D96
	v_mul_f32_e64 v45, -v151, s6                               // 0000000069D0: D105002D 20000D97
	v_exp_f32_e32 v42, v42                                     // 0000000069D8: 7E54412A
	v_exp_f32_e32 v43, v43                                     // 0000000069DC: 7E56412B
	v_exp_f32_e32 v44, v44                                     // 0000000069E0: 7E58412C
	v_exp_f32_e32 v45, v45                                     // 0000000069E4: 7E5A412D
	buffer_load_dwordx4 a[44:47], v49, s[12:15], 0 offen       // 0000000069E8: E05C1000 80832C31
	s_add_u32 s12, s78, s12                                    // 0000000069F0: 800C0C4E
	s_addc_u32 s13, 0, s13                                     // 0000000069F4: 820D0D80
	v_add_f32_e64 v42, v42, 1.0                                // 0000000069F8: D101002A 0001E52A
	v_add_f32_e64 v43, v43, 1.0                                // 000000006A00: D101002B 0001E52B
	v_add_f32_e64 v44, v44, 1.0                                // 000000006A08: D101002C 0001E52C
	v_add_f32_e64 v45, v45, 1.0                                // 000000006A10: D101002D 0001E52D
	v_rcp_f32_e32 v42, v42                                     // 000000006A18: 7E54452A
	v_rcp_f32_e32 v43, v43                                     // 000000006A1C: 7E56452B
	v_rcp_f32_e32 v44, v44                                     // 000000006A20: 7E58452C
	v_rcp_f32_e32 v45, v45                                     // 000000006A24: 7E5A452D
	v_pk_mul_f32 v[148:149], v[148:149], v[42:43]              // 000000006A28: D3B14094 18025594
	v_pk_mul_f32 v[150:151], v[150:151], v[44:45]              // 000000006A30: D3B14096 18025996
	v_pk_mul_f32 v[148:149], v[148:149], v[84:85]              // 000000006A38: D3B14094 1802A994
	v_pk_mul_f32 v[150:151], v[150:151], v[86:87]              // 000000006A40: D3B14096 1802AD96
	s_waitcnt vmcnt(20)                                        // 000000006A48: BF8C4F74
	buffer_load_dwordx4 a[48:51], v46, s[12:15], 0 offen       // 000000006A4C: E05C1000 8083302E
	v_mul_f32_e64 v42, -v152, s6                               // 000000006A54: D105002A 20000D98
	v_mul_f32_e64 v43, -v153, s6                               // 000000006A5C: D105002B 20000D99
	v_mul_f32_e64 v44, -v154, s6                               // 000000006A64: D105002C 20000D9A
	v_mul_f32_e64 v45, -v155, s6                               // 000000006A6C: D105002D 20000D9B
	v_exp_f32_e32 v42, v42                                     // 000000006A74: 7E54412A
	v_exp_f32_e32 v43, v43                                     // 000000006A78: 7E56412B
	v_exp_f32_e32 v44, v44                                     // 000000006A7C: 7E58412C
	v_exp_f32_e32 v45, v45                                     // 000000006A80: 7E5A412D
	buffer_load_dwordx4 a[52:55], v47, s[12:15], 0 offen       // 000000006A84: E05C1000 8083342F
	v_add_f32_e64 v42, v42, 1.0                                // 000000006A8C: D101002A 0001E52A
	v_add_f32_e64 v43, v43, 1.0                                // 000000006A94: D101002B 0001E52B
	v_add_f32_e64 v44, v44, 1.0                                // 000000006A9C: D101002C 0001E52C
	v_add_f32_e64 v45, v45, 1.0                                // 000000006AA4: D101002D 0001E52D
	v_rcp_f32_e32 v42, v42                                     // 000000006AAC: 7E54452A
	v_rcp_f32_e32 v43, v43                                     // 000000006AB0: 7E56452B
	v_rcp_f32_e32 v44, v44                                     // 000000006AB4: 7E58452C
	v_rcp_f32_e32 v45, v45                                     // 000000006AB8: 7E5A452D
	v_pk_mul_f32 v[152:153], v[152:153], v[42:43]              // 000000006ABC: D3B14098 18025598
	v_pk_mul_f32 v[154:155], v[154:155], v[44:45]              // 000000006AC4: D3B1409A 1802599A
	v_pk_mul_f32 v[152:153], v[152:153], v[88:89]              // 000000006ACC: D3B14098 1802B198
	v_pk_mul_f32 v[154:155], v[154:155], v[90:91]              // 000000006AD4: D3B1409A 1802B59A
	buffer_load_dwordx4 a[56:59], v48, s[12:15], 0 offen       // 000000006ADC: E05C1000 80833830
	v_mul_f32_e64 v42, -v156, s6                               // 000000006AE4: D105002A 20000D9C
	v_mul_f32_e64 v43, -v157, s6                               // 000000006AEC: D105002B 20000D9D
	v_mul_f32_e64 v44, -v158, s6                               // 000000006AF4: D105002C 20000D9E
	v_mul_f32_e64 v45, -v159, s6                               // 000000006AFC: D105002D 20000D9F
	v_exp_f32_e32 v42, v42                                     // 000000006B04: 7E54412A
	v_exp_f32_e32 v43, v43                                     // 000000006B08: 7E56412B
	v_exp_f32_e32 v44, v44                                     // 000000006B0C: 7E58412C
	v_exp_f32_e32 v45, v45                                     // 000000006B10: 7E5A412D
	buffer_load_dwordx4 a[60:63], v49, s[12:15], 0 offen       // 000000006B14: E05C1000 80833C31
	s_add_u32 s12, s78, s12                                    // 000000006B1C: 800C0C4E
	s_addc_u32 s13, 0, s13                                     // 000000006B20: 820D0D80
	v_add_f32_e64 v42, v42, 1.0                                // 000000006B24: D101002A 0001E52A
	v_add_f32_e64 v43, v43, 1.0                                // 000000006B2C: D101002B 0001E52B
	v_add_f32_e64 v44, v44, 1.0                                // 000000006B34: D101002C 0001E52C
	v_add_f32_e64 v45, v45, 1.0                                // 000000006B3C: D101002D 0001E52D
	v_rcp_f32_e32 v42, v42                                     // 000000006B44: 7E54452A
	v_rcp_f32_e32 v43, v43                                     // 000000006B48: 7E56452B
	v_rcp_f32_e32 v44, v44                                     // 000000006B4C: 7E58452C
	v_rcp_f32_e32 v45, v45                                     // 000000006B50: 7E5A452D
	v_pk_mul_f32 v[156:157], v[156:157], v[42:43]              // 000000006B54: D3B1409C 1802559C
	v_pk_mul_f32 v[158:159], v[158:159], v[44:45]              // 000000006B5C: D3B1409E 1802599E
	v_pk_mul_f32 v[156:157], v[156:157], v[92:93]              // 000000006B64: D3B1409C 1802B99C
	v_pk_mul_f32 v[158:159], v[158:159], v[94:95]              // 000000006B6C: D3B1409E 1802BD9E
	s_waitcnt vmcnt(20)                                        // 000000006B74: BF8C4F74
	buffer_load_dwordx4 a[64:67], v46, s[12:15], 0 offen       // 000000006B78: E05C1000 8083402E
	v_mul_f32_e64 v42, -v160, s6                               // 000000006B80: D105002A 20000DA0
	v_mul_f32_e64 v43, -v161, s6                               // 000000006B88: D105002B 20000DA1
	v_mul_f32_e64 v44, -v162, s6                               // 000000006B90: D105002C 20000DA2
	v_mul_f32_e64 v45, -v163, s6                               // 000000006B98: D105002D 20000DA3
	v_exp_f32_e32 v42, v42                                     // 000000006BA0: 7E54412A
	v_exp_f32_e32 v43, v43                                     // 000000006BA4: 7E56412B
	v_exp_f32_e32 v44, v44                                     // 000000006BA8: 7E58412C
	v_exp_f32_e32 v45, v45                                     // 000000006BAC: 7E5A412D
	buffer_load_dwordx4 a[68:71], v47, s[12:15], 0 offen       // 000000006BB0: E05C1000 8083442F
	v_add_f32_e64 v42, v42, 1.0                                // 000000006BB8: D101002A 0001E52A
	v_add_f32_e64 v43, v43, 1.0                                // 000000006BC0: D101002B 0001E52B
	v_add_f32_e64 v44, v44, 1.0                                // 000000006BC8: D101002C 0001E52C
	v_add_f32_e64 v45, v45, 1.0                                // 000000006BD0: D101002D 0001E52D
	v_rcp_f32_e32 v42, v42                                     // 000000006BD8: 7E54452A
	v_rcp_f32_e32 v43, v43                                     // 000000006BDC: 7E56452B
	v_rcp_f32_e32 v44, v44                                     // 000000006BE0: 7E58452C
	v_rcp_f32_e32 v45, v45                                     // 000000006BE4: 7E5A452D
	v_pk_mul_f32 v[160:161], v[160:161], v[42:43]              // 000000006BE8: D3B140A0 180255A0
	v_pk_mul_f32 v[162:163], v[162:163], v[44:45]              // 000000006BF0: D3B140A2 180259A2
	v_pk_mul_f32 v[160:161], v[160:161], v[96:97]              // 000000006BF8: D3B140A0 1802C1A0
	v_pk_mul_f32 v[162:163], v[162:163], v[98:99]              // 000000006C00: D3B140A2 1802C5A2
	buffer_load_dwordx4 a[72:75], v48, s[12:15], 0 offen       // 000000006C08: E05C1000 80834830
	v_mul_f32_e64 v42, -v164, s6                               // 000000006C10: D105002A 20000DA4
	v_mul_f32_e64 v43, -v165, s6                               // 000000006C18: D105002B 20000DA5
	v_mul_f32_e64 v44, -v166, s6                               // 000000006C20: D105002C 20000DA6
	v_mul_f32_e64 v45, -v167, s6                               // 000000006C28: D105002D 20000DA7
	v_exp_f32_e32 v42, v42                                     // 000000006C30: 7E54412A
	v_exp_f32_e32 v43, v43                                     // 000000006C34: 7E56412B
	v_exp_f32_e32 v44, v44                                     // 000000006C38: 7E58412C
	v_exp_f32_e32 v45, v45                                     // 000000006C3C: 7E5A412D
	buffer_load_dwordx4 a[76:79], v49, s[12:15], 0 offen       // 000000006C40: E05C1000 80834C31
	s_add_u32 s12, s78, s12                                    // 000000006C48: 800C0C4E
	s_addc_u32 s13, 0, s13                                     // 000000006C4C: 820D0D80
	v_add_f32_e64 v42, v42, 1.0                                // 000000006C50: D101002A 0001E52A
	v_add_f32_e64 v43, v43, 1.0                                // 000000006C58: D101002B 0001E52B
	v_add_f32_e64 v44, v44, 1.0                                // 000000006C60: D101002C 0001E52C
	v_add_f32_e64 v45, v45, 1.0                                // 000000006C68: D101002D 0001E52D
	v_rcp_f32_e32 v42, v42                                     // 000000006C70: 7E54452A
	v_rcp_f32_e32 v43, v43                                     // 000000006C74: 7E56452B
	v_rcp_f32_e32 v44, v44                                     // 000000006C78: 7E58452C
	v_rcp_f32_e32 v45, v45                                     // 000000006C7C: 7E5A452D
	v_pk_mul_f32 v[164:165], v[164:165], v[42:43]              // 000000006C80: D3B140A4 180255A4
	v_pk_mul_f32 v[166:167], v[166:167], v[44:45]              // 000000006C88: D3B140A6 180259A6
	v_pk_mul_f32 v[164:165], v[164:165], v[100:101]            // 000000006C90: D3B140A4 1802C9A4
	v_pk_mul_f32 v[166:167], v[166:167], v[102:103]            // 000000006C98: D3B140A6 1802CDA6
	s_waitcnt vmcnt(20)                                        // 000000006CA0: BF8C4F74
	buffer_load_dwordx4 a[80:83], v46, s[12:15], 0 offen       // 000000006CA4: E05C1000 8083502E
	v_mul_f32_e64 v42, -v168, s6                               // 000000006CAC: D105002A 20000DA8
	v_mul_f32_e64 v43, -v169, s6                               // 000000006CB4: D105002B 20000DA9
	v_mul_f32_e64 v44, -v170, s6                               // 000000006CBC: D105002C 20000DAA
	v_mul_f32_e64 v45, -v171, s6                               // 000000006CC4: D105002D 20000DAB
	v_exp_f32_e32 v42, v42                                     // 000000006CCC: 7E54412A
	v_exp_f32_e32 v43, v43                                     // 000000006CD0: 7E56412B
	v_exp_f32_e32 v44, v44                                     // 000000006CD4: 7E58412C
	v_exp_f32_e32 v45, v45                                     // 000000006CD8: 7E5A412D
	buffer_load_dwordx4 a[84:87], v47, s[12:15], 0 offen       // 000000006CDC: E05C1000 8083542F
	v_add_f32_e64 v42, v42, 1.0                                // 000000006CE4: D101002A 0001E52A
	v_add_f32_e64 v43, v43, 1.0                                // 000000006CEC: D101002B 0001E52B
	v_add_f32_e64 v44, v44, 1.0                                // 000000006CF4: D101002C 0001E52C
	v_add_f32_e64 v45, v45, 1.0                                // 000000006CFC: D101002D 0001E52D
	v_rcp_f32_e32 v42, v42                                     // 000000006D04: 7E54452A
	v_rcp_f32_e32 v43, v43                                     // 000000006D08: 7E56452B
	v_rcp_f32_e32 v44, v44                                     // 000000006D0C: 7E58452C
	v_rcp_f32_e32 v45, v45                                     // 000000006D10: 7E5A452D
	v_pk_mul_f32 v[168:169], v[168:169], v[42:43]              // 000000006D14: D3B140A8 180255A8
	v_pk_mul_f32 v[170:171], v[170:171], v[44:45]              // 000000006D1C: D3B140AA 180259AA
	v_pk_mul_f32 v[168:169], v[168:169], v[104:105]            // 000000006D24: D3B140A8 1802D1A8
	v_pk_mul_f32 v[170:171], v[170:171], v[106:107]            // 000000006D2C: D3B140AA 1802D5AA
	buffer_load_dwordx4 a[88:91], v48, s[12:15], 0 offen       // 000000006D34: E05C1000 80835830
	v_mul_f32_e64 v42, -v172, s6                               // 000000006D3C: D105002A 20000DAC
	v_mul_f32_e64 v43, -v173, s6                               // 000000006D44: D105002B 20000DAD
	v_mul_f32_e64 v44, -v174, s6                               // 000000006D4C: D105002C 20000DAE
	v_mul_f32_e64 v45, -v175, s6                               // 000000006D54: D105002D 20000DAF
	v_exp_f32_e32 v42, v42                                     // 000000006D5C: 7E54412A
	v_exp_f32_e32 v43, v43                                     // 000000006D60: 7E56412B
	v_exp_f32_e32 v44, v44                                     // 000000006D64: 7E58412C
	v_exp_f32_e32 v45, v45                                     // 000000006D68: 7E5A412D
	buffer_load_dwordx4 a[92:95], v49, s[12:15], 0 offen       // 000000006D6C: E05C1000 80835C31
	v_add_f32_e64 v42, v42, 1.0                                // 000000006D74: D101002A 0001E52A
	v_add_f32_e64 v43, v43, 1.0                                // 000000006D7C: D101002B 0001E52B
	v_add_f32_e64 v44, v44, 1.0                                // 000000006D84: D101002C 0001E52C
	v_add_f32_e64 v45, v45, 1.0                                // 000000006D8C: D101002D 0001E52D
	v_rcp_f32_e32 v42, v42                                     // 000000006D94: 7E54452A
	v_rcp_f32_e32 v43, v43                                     // 000000006D98: 7E56452B
	v_rcp_f32_e32 v44, v44                                     // 000000006D9C: 7E58452C
	v_rcp_f32_e32 v45, v45                                     // 000000006DA0: 7E5A452D
	v_pk_mul_f32 v[172:173], v[172:173], v[42:43]              // 000000006DA4: D3B140AC 180255AC
	v_pk_mul_f32 v[174:175], v[174:175], v[44:45]              // 000000006DAC: D3B140AE 180259AE
	v_pk_mul_f32 v[172:173], v[172:173], v[108:109]            // 000000006DB4: D3B140AC 1802D9AC
	v_pk_mul_f32 v[174:175], v[174:175], v[110:111]            // 000000006DBC: D3B140AE 1802DDAE
	v_mul_f32_dpp v128, v18, v128 row_newbcast:0 row_mask:0xf bank_mask:0xf// 000000006DC4: 0B0100FA FF015012
	v_mul_f32_dpp v129, v18, v129 row_newbcast:1 row_mask:0xf bank_mask:0xf// 000000006DCC: 0B0302FA FF015112
	v_mul_f32_dpp v130, v18, v130 row_newbcast:2 row_mask:0xf bank_mask:0xf// 000000006DD4: 0B0504FA FF015212
	v_mul_f32_dpp v131, v18, v131 row_newbcast:3 row_mask:0xf bank_mask:0xf// 000000006DDC: 0B0706FA FF015312
	v_mul_f32_dpp v132, v18, v132 row_newbcast:0 row_mask:0xf bank_mask:0xf// 000000006DE4: 0B0908FA FF015012
	v_mul_f32_dpp v133, v18, v133 row_newbcast:1 row_mask:0xf bank_mask:0xf// 000000006DEC: 0B0B0AFA FF015112
	v_mul_f32_dpp v134, v18, v134 row_newbcast:2 row_mask:0xf bank_mask:0xf// 000000006DF4: 0B0D0CFA FF015212
	v_mul_f32_dpp v135, v18, v135 row_newbcast:3 row_mask:0xf bank_mask:0xf// 000000006DFC: 0B0F0EFA FF015312
	v_mul_f32_dpp v136, v18, v136 row_newbcast:4 row_mask:0xf bank_mask:0xf// 000000006E04: 0B1110FA FF015412
	v_mul_f32_dpp v137, v18, v137 row_newbcast:5 row_mask:0xf bank_mask:0xf// 000000006E0C: 0B1312FA FF015512
	v_mul_f32_dpp v138, v18, v138 row_newbcast:6 row_mask:0xf bank_mask:0xf// 000000006E14: 0B1514FA FF015612
	v_mul_f32_dpp v139, v18, v139 row_newbcast:7 row_mask:0xf bank_mask:0xf// 000000006E1C: 0B1716FA FF015712
	v_mul_f32_dpp v140, v18, v140 row_newbcast:4 row_mask:0xf bank_mask:0xf// 000000006E24: 0B1918FA FF015412
	v_mul_f32_dpp v141, v18, v141 row_newbcast:5 row_mask:0xf bank_mask:0xf// 000000006E2C: 0B1B1AFA FF015512
	v_mul_f32_dpp v142, v18, v142 row_newbcast:6 row_mask:0xf bank_mask:0xf// 000000006E34: 0B1D1CFA FF015612
	v_mul_f32_dpp v143, v18, v143 row_newbcast:7 row_mask:0xf bank_mask:0xf// 000000006E3C: 0B1F1EFA FF015712
	v_mul_f32_dpp v144, v18, v144 row_newbcast:8 row_mask:0xf bank_mask:0xf// 000000006E44: 0B2120FA FF015812
	v_mul_f32_dpp v145, v18, v145 row_newbcast:9 row_mask:0xf bank_mask:0xf// 000000006E4C: 0B2322FA FF015912
	v_mul_f32_dpp v146, v18, v146 row_newbcast:10 row_mask:0xf bank_mask:0xf// 000000006E54: 0B2524FA FF015A12
	v_mul_f32_dpp v147, v18, v147 row_newbcast:11 row_mask:0xf bank_mask:0xf// 000000006E5C: 0B2726FA FF015B12
	v_mul_f32_dpp v148, v18, v148 row_newbcast:8 row_mask:0xf bank_mask:0xf// 000000006E64: 0B2928FA FF015812
	v_mul_f32_dpp v149, v18, v149 row_newbcast:9 row_mask:0xf bank_mask:0xf// 000000006E6C: 0B2B2AFA FF015912
	v_mul_f32_dpp v150, v18, v150 row_newbcast:10 row_mask:0xf bank_mask:0xf// 000000006E74: 0B2D2CFA FF015A12
	v_mul_f32_dpp v151, v18, v151 row_newbcast:11 row_mask:0xf bank_mask:0xf// 000000006E7C: 0B2F2EFA FF015B12
	v_mul_f32_dpp v152, v18, v152 row_newbcast:12 row_mask:0xf bank_mask:0xf// 000000006E84: 0B3130FA FF015C12
	v_mul_f32_dpp v153, v18, v153 row_newbcast:13 row_mask:0xf bank_mask:0xf// 000000006E8C: 0B3332FA FF015D12
	v_mul_f32_dpp v154, v18, v154 row_newbcast:14 row_mask:0xf bank_mask:0xf// 000000006E94: 0B3534FA FF015E12
	v_mul_f32_dpp v155, v18, v155 row_newbcast:15 row_mask:0xf bank_mask:0xf// 000000006E9C: 0B3736FA FF015F12
	v_mul_f32_dpp v156, v18, v156 row_newbcast:12 row_mask:0xf bank_mask:0xf// 000000006EA4: 0B3938FA FF015C12
	v_mul_f32_dpp v157, v18, v157 row_newbcast:13 row_mask:0xf bank_mask:0xf// 000000006EAC: 0B3B3AFA FF015D12
	v_mul_f32_dpp v158, v18, v158 row_newbcast:14 row_mask:0xf bank_mask:0xf// 000000006EB4: 0B3D3CFA FF015E12
	v_mul_f32_dpp v159, v18, v159 row_newbcast:15 row_mask:0xf bank_mask:0xf// 000000006EBC: 0B3F3EFA FF015F12
	v_mul_f32_dpp v160, v19, v160 row_newbcast:0 row_mask:0xf bank_mask:0xf// 000000006EC4: 0B4140FA FF015013
	v_mul_f32_dpp v161, v19, v161 row_newbcast:1 row_mask:0xf bank_mask:0xf// 000000006ECC: 0B4342FA FF015113
	v_mul_f32_dpp v162, v19, v162 row_newbcast:2 row_mask:0xf bank_mask:0xf// 000000006ED4: 0B4544FA FF015213
	v_mul_f32_dpp v163, v19, v163 row_newbcast:3 row_mask:0xf bank_mask:0xf// 000000006EDC: 0B4746FA FF015313
	v_mul_f32_dpp v164, v19, v164 row_newbcast:0 row_mask:0xf bank_mask:0xf// 000000006EE4: 0B4948FA FF015013
	v_mul_f32_dpp v165, v19, v165 row_newbcast:1 row_mask:0xf bank_mask:0xf// 000000006EEC: 0B4B4AFA FF015113
	v_mul_f32_dpp v166, v19, v166 row_newbcast:2 row_mask:0xf bank_mask:0xf// 000000006EF4: 0B4D4CFA FF015213
	v_mul_f32_dpp v167, v19, v167 row_newbcast:3 row_mask:0xf bank_mask:0xf// 000000006EFC: 0B4F4EFA FF015313
	v_mul_f32_dpp v168, v19, v168 row_newbcast:4 row_mask:0xf bank_mask:0xf// 000000006F04: 0B5150FA FF015413
	v_mul_f32_dpp v169, v19, v169 row_newbcast:5 row_mask:0xf bank_mask:0xf// 000000006F0C: 0B5352FA FF015513
	v_mul_f32_dpp v170, v19, v170 row_newbcast:6 row_mask:0xf bank_mask:0xf// 000000006F14: 0B5554FA FF015613
	v_mul_f32_dpp v171, v19, v171 row_newbcast:7 row_mask:0xf bank_mask:0xf// 000000006F1C: 0B5756FA FF015713
	v_mul_f32_dpp v172, v19, v172 row_newbcast:4 row_mask:0xf bank_mask:0xf// 000000006F24: 0B5958FA FF015413
	v_mul_f32_dpp v173, v19, v173 row_newbcast:5 row_mask:0xf bank_mask:0xf// 000000006F2C: 0B5B5AFA FF015513
	v_mul_f32_dpp v174, v19, v174 row_newbcast:6 row_mask:0xf bank_mask:0xf// 000000006F34: 0B5D5CFA FF015613
	v_mul_f32_dpp v175, v19, v175 row_newbcast:7 row_mask:0xf bank_mask:0xf// 000000006F3C: 0B5F5EFA FF015713
	v_lshlrev_b32_e32 v42, 2, v0                               // 000000006F44: 24540082
	s_mul_i32 s60, s82, s71                                    // 000000006F48: 923C4752
	v_add_u32_e64 v80, v42, s60                                // 000000006F4C: D1340050 0000792A
	v_mov_b32_e32 v81, 0                                       // 000000006F54: 7EA20280
	s_mul_i32 s60, s83, s71                                    // 000000006F58: 923C4753
	v_add_u32_e64 v82, v42, s60                                // 000000006F5C: D1340052 0000792A
	v_mov_b32_e32 v83, 0                                       // 000000006F64: 7EA60280
	s_mul_i32 s60, s84, s71                                    // 000000006F68: 923C4754
	v_add_u32_e64 v84, v42, s60                                // 000000006F6C: D1340054 0000792A
	v_mov_b32_e32 v85, 0                                       // 000000006F74: 7EAA0280
	s_mul_i32 s60, s85, s71                                    // 000000006F78: 923C4755
	v_add_u32_e64 v86, v42, s60                                // 000000006F7C: D1340056 0000792A
	v_mov_b32_e32 v87, 0                                       // 000000006F84: 7EAE0280
	s_mul_i32 s60, s86, s71                                    // 000000006F88: 923C4756
	v_add_u32_e64 v88, v42, s60                                // 000000006F8C: D1340058 0000792A
	v_mov_b32_e32 v89, 0                                       // 000000006F94: 7EB20280
	s_mul_i32 s60, s87, s71                                    // 000000006F98: 923C4757
	v_add_u32_e64 v90, v42, s60                                // 000000006F9C: D134005A 0000792A
	v_mov_b32_e32 v91, 0                                       // 000000006FA4: 7EB60280
	s_mul_i32 s60, s88, s71                                    // 000000006FA8: 923C4758
	v_add_u32_e64 v92, v42, s60                                // 000000006FAC: D134005C 0000792A
	v_mov_b32_e32 v93, 0                                       // 000000006FB4: 7EBA0280
	s_mul_i32 s60, s89, s71                                    // 000000006FB8: 923C4759
	v_add_u32_e64 v94, v42, s60                                // 000000006FBC: D134005E 0000792A
	v_mov_b32_e32 v95, 0                                       // 000000006FC4: 7EBE0280
	buffer_load_dword v12, v5, s[16:19], 0 offen               // 000000006FC8: E0501000 80040C05
	v_mov_b32_e32 v22, 0x358637bd                              // 000000006FD0: 7E2C02FF 358637BD
	v_mov_b32_e32 v23, 0x358637bd                              // 000000006FD8: 7E2E02FF 358637BD
	v_max3_f32 v22, |v128|, |v129|, v22                        // 000000006FE0: D1D30316 045B0380
	v_max3_f32 v22, |v130|, |v131|, v22                        // 000000006FE8: D1D30316 045B0782
	v_max3_f32 v23, |v132|, |v133|, v23                        // 000000006FF0: D1D30317 045F0B84
	v_max3_f32 v23, |v134|, |v135|, v23                        // 000000006FF8: D1D30317 045F0F86
	v_max3_f32 v22, |v136|, |v137|, v22                        // 000000007000: D1D30316 045B1388
	v_max3_f32 v22, |v138|, |v139|, v22                        // 000000007008: D1D30316 045B178A
	v_max3_f32 v23, |v140|, |v141|, v23                        // 000000007010: D1D30317 045F1B8C
	v_max3_f32 v23, |v142|, |v143|, v23                        // 000000007018: D1D30317 045F1F8E
	v_max3_f32 v22, |v144|, |v145|, v22                        // 000000007020: D1D30316 045B2390
	v_max3_f32 v22, |v146|, |v147|, v22                        // 000000007028: D1D30316 045B2792
	v_max3_f32 v23, |v148|, |v149|, v23                        // 000000007030: D1D30317 045F2B94
	v_max3_f32 v23, |v150|, |v151|, v23                        // 000000007038: D1D30317 045F2F96
	v_max3_f32 v22, |v152|, |v153|, v22                        // 000000007040: D1D30316 045B3398
	v_max3_f32 v22, |v154|, |v155|, v22                        // 000000007048: D1D30316 045B379A
	v_max3_f32 v23, |v156|, |v157|, v23                        // 000000007050: D1D30317 045F3B9C
	v_max3_f32 v23, |v158|, |v159|, v23                        // 000000007058: D1D30317 045F3F9E
	v_max3_f32 v22, |v160|, |v161|, v22                        // 000000007060: D1D30316 045B43A0
	v_max3_f32 v22, |v162|, |v163|, v22                        // 000000007068: D1D30316 045B47A2
	v_max3_f32 v23, |v164|, |v165|, v23                        // 000000007070: D1D30317 045F4BA4
	v_max3_f32 v23, |v166|, |v167|, v23                        // 000000007078: D1D30317 045F4FA6
	v_max3_f32 v22, |v168|, |v169|, v22                        // 000000007080: D1D30316 045B53A8
	v_max3_f32 v22, |v170|, |v171|, v22                        // 000000007088: D1D30316 045B57AA
	v_max3_f32 v23, |v172|, |v173|, v23                        // 000000007090: D1D30317 045F5BAC
	v_max3_f32 v23, |v174|, |v175|, v23                        // 000000007098: D1D30317 045F5FAE
	v_lshlrev_b32_e32 v42, 3, v0                               // 0000000070A0: 24540083
	s_mul_i32 s60, 0x200, s5                                   // 0000000070A4: 923C05FF 00000200
	v_add_u32_e32 v42, s60, v42                                // 0000000070AC: 6854543C
	ds_write_b64 v42, v[22:23]                                 // 0000000070B0: D89A0000 0000162A
	s_waitcnt lgkmcnt(0)                                       // 0000000070B8: BF8CC07F
	s_barrier                                                  // 0000000070BC: BF8A0000
	v_and_b32_e32 v42, 15, v0                                  // 0000000070C0: 2654008F
	v_lshlrev_b32_e32 v42, 3, v42                              // 0000000070C4: 24545483
	ds_read_b64 v[96:97], v42                                  // 0000000070C8: D8EC0000 6000002A
	ds_read_b64 v[98:99], v42 offset:128                       // 0000000070D0: D8EC0080 6200002A
	ds_read_b64 v[100:101], v42 offset:256                     // 0000000070D8: D8EC0100 6400002A
	ds_read_b64 v[102:103], v42 offset:384                     // 0000000070E0: D8EC0180 6600002A
	ds_read_b64 v[104:105], v42 offset:512                     // 0000000070E8: D8EC0200 6800002A
	ds_read_b64 v[106:107], v42 offset:640                     // 0000000070F0: D8EC0280 6A00002A
	ds_read_b64 v[108:109], v42 offset:768                     // 0000000070F8: D8EC0300 6C00002A
	ds_read_b64 v[110:111], v42 offset:896                     // 000000007100: D8EC0380 6E00002A
	ds_read_b64 v[112:113], v42 offset:1024                    // 000000007108: D8EC0400 7000002A
	ds_read_b64 v[114:115], v42 offset:1152                    // 000000007110: D8EC0480 7200002A
	ds_read_b64 v[116:117], v42 offset:1280                    // 000000007118: D8EC0500 7400002A
	ds_read_b64 v[118:119], v42 offset:1408                    // 000000007120: D8EC0580 7600002A
	ds_read_b64 v[120:121], v42 offset:1536                    // 000000007128: D8EC0600 7800002A
	ds_read_b64 v[122:123], v42 offset:1664                    // 000000007130: D8EC0680 7A00002A
	ds_read_b64 v[124:125], v42 offset:1792                    // 000000007138: D8EC0700 7C00002A
	ds_read_b64 v[126:127], v42 offset:1920                    // 000000007140: D8EC0780 7E00002A
	s_waitcnt lgkmcnt(0)                                       // 000000007148: BF8CC07F
	v_max3_f32 v22, |v96|, |v98|, v22                          // 00000000714C: D1D30316 045AC560
	v_max3_f32 v23, |v97|, |v99|, v23                          // 000000007154: D1D30317 045EC761
	v_max3_f32 v22, |v100|, |v102|, v22                        // 00000000715C: D1D30316 045ACD64
	v_max3_f32 v23, |v101|, |v103|, v23                        // 000000007164: D1D30317 045ECF65
	v_max3_f32 v22, |v104|, |v106|, v22                        // 00000000716C: D1D30316 045AD568
	v_max3_f32 v23, |v105|, |v107|, v23                        // 000000007174: D1D30317 045ED769
	v_max3_f32 v22, |v108|, |v110|, v22                        // 00000000717C: D1D30316 045ADD6C
	v_max3_f32 v23, |v109|, |v111|, v23                        // 000000007184: D1D30317 045EDF6D
	v_max3_f32 v22, |v112|, |v114|, v22                        // 00000000718C: D1D30316 045AE570
	v_max3_f32 v23, |v113|, |v115|, v23                        // 000000007194: D1D30317 045EE771
	v_max3_f32 v22, |v116|, |v118|, v22                        // 00000000719C: D1D30316 045AED74
	v_max3_f32 v23, |v117|, |v119|, v23                        // 0000000071A4: D1D30317 045EEF75
	v_max3_f32 v22, |v120|, |v122|, v22                        // 0000000071AC: D1D30316 045AF578
	v_max3_f32 v23, |v121|, |v123|, v23                        // 0000000071B4: D1D30317 045EF779
	v_max3_f32 v22, |v124|, |v126|, v22                        // 0000000071BC: D1D30316 045AFD7C
	v_max3_f32 v23, |v125|, |v127|, v23                        // 0000000071C4: D1D30317 045EFF7D
	v_rcp_f32_e32 v22, v22                                     // 0000000071CC: 7E2C4516
	v_rcp_f32_e32 v23, v23                                     // 0000000071D0: 7E2E4517
	v_mov_b32_e32 v42, 0x42fe0000                              // 0000000071D4: 7E5402FF 42FE0000
	v_mul_f32_e32 v22, v42, v22                                // 0000000071DC: 0A2C2D2A
	v_mul_f32_e32 v23, v42, v23                                // 0000000071E0: 0A2E2F2A
	v_mul_f32_e32 v128, v22, v128                              // 0000000071E4: 0B010116
	v_mul_f32_e32 v129, v22, v129                              // 0000000071E8: 0B030316
	v_mul_f32_e32 v130, v22, v130                              // 0000000071EC: 0B050516
	v_mul_f32_e32 v131, v22, v131                              // 0000000071F0: 0B070716
	v_cvt_i32_f32_e32 v128, v128                               // 0000000071F4: 7F001180
	v_cvt_i32_f32_e32 v129, v129                               // 0000000071F8: 7F021181
	v_cvt_i32_f32_e32 v130, v130                               // 0000000071FC: 7F041182
	v_cvt_i32_f32_e32 v131, v131                               // 000000007200: 7F061183
	v_perm_b32 v128, v129, v128, s53                           // 000000007204: D1ED0080 00D70181
	v_perm_b32 v128, v130, v128, s54                           // 00000000720C: D1ED0080 00DB0182
	v_perm_b32 v128, v131, v128, s55                           // 000000007214: D1ED0080 00DF0183
	v_mul_f32_e32 v132, v23, v132                              // 00000000721C: 0B090917
	v_mul_f32_e32 v133, v23, v133                              // 000000007220: 0B0B0B17
	v_mul_f32_e32 v134, v23, v134                              // 000000007224: 0B0D0D17
	v_mul_f32_e32 v135, v23, v135                              // 000000007228: 0B0F0F17
	v_cvt_i32_f32_e32 v132, v132                               // 00000000722C: 7F081184
	v_cvt_i32_f32_e32 v133, v133                               // 000000007230: 7F0A1185
	v_cvt_i32_f32_e32 v134, v134                               // 000000007234: 7F0C1186
	v_cvt_i32_f32_e32 v135, v135                               // 000000007238: 7F0E1187
	v_perm_b32 v129, v133, v132, s53                           // 00000000723C: D1ED0081 00D70985
	v_perm_b32 v129, v134, v129, s54                           // 000000007244: D1ED0081 00DB0386
	v_perm_b32 v129, v135, v129, s55                           // 00000000724C: D1ED0081 00DF0387
	v_mul_f32_e32 v136, v22, v136                              // 000000007254: 0B111116
	v_mul_f32_e32 v137, v22, v137                              // 000000007258: 0B131316
	v_mul_f32_e32 v138, v22, v138                              // 00000000725C: 0B151516
	v_mul_f32_e32 v139, v22, v139                              // 000000007260: 0B171716
	v_cvt_i32_f32_e32 v136, v136                               // 000000007264: 7F101188
	v_cvt_i32_f32_e32 v137, v137                               // 000000007268: 7F121189
	v_cvt_i32_f32_e32 v138, v138                               // 00000000726C: 7F14118A
	v_cvt_i32_f32_e32 v139, v139                               // 000000007270: 7F16118B
	v_perm_b32 v130, v137, v136, s53                           // 000000007274: D1ED0082 00D71189
	v_perm_b32 v130, v138, v130, s54                           // 00000000727C: D1ED0082 00DB058A
	v_perm_b32 v130, v139, v130, s55                           // 000000007284: D1ED0082 00DF058B
	v_mul_f32_e32 v140, v23, v140                              // 00000000728C: 0B191917
	v_mul_f32_e32 v141, v23, v141                              // 000000007290: 0B1B1B17
	v_mul_f32_e32 v142, v23, v142                              // 000000007294: 0B1D1D17
	v_mul_f32_e32 v143, v23, v143                              // 000000007298: 0B1F1F17
	v_cvt_i32_f32_e32 v140, v140                               // 00000000729C: 7F18118C
	v_cvt_i32_f32_e32 v141, v141                               // 0000000072A0: 7F1A118D
	v_cvt_i32_f32_e32 v142, v142                               // 0000000072A4: 7F1C118E
	v_cvt_i32_f32_e32 v143, v143                               // 0000000072A8: 7F1E118F
	v_perm_b32 v131, v141, v140, s53                           // 0000000072AC: D1ED0083 00D7198D
	v_perm_b32 v131, v142, v131, s54                           // 0000000072B4: D1ED0083 00DB078E
	v_perm_b32 v131, v143, v131, s55                           // 0000000072BC: D1ED0083 00DF078F
	v_mul_f32_e32 v144, v22, v144                              // 0000000072C4: 0B212116
	v_mul_f32_e32 v145, v22, v145                              // 0000000072C8: 0B232316
	v_mul_f32_e32 v146, v22, v146                              // 0000000072CC: 0B252516
	v_mul_f32_e32 v147, v22, v147                              // 0000000072D0: 0B272716
	v_cvt_i32_f32_e32 v144, v144                               // 0000000072D4: 7F201190
	v_cvt_i32_f32_e32 v145, v145                               // 0000000072D8: 7F221191
	v_cvt_i32_f32_e32 v146, v146                               // 0000000072DC: 7F241192
	v_cvt_i32_f32_e32 v147, v147                               // 0000000072E0: 7F261193
	v_perm_b32 v132, v145, v144, s53                           // 0000000072E4: D1ED0084 00D72191
	v_perm_b32 v132, v146, v132, s54                           // 0000000072EC: D1ED0084 00DB0992
	v_perm_b32 v132, v147, v132, s55                           // 0000000072F4: D1ED0084 00DF0993
	v_mul_f32_e32 v148, v23, v148                              // 0000000072FC: 0B292917
	v_mul_f32_e32 v149, v23, v149                              // 000000007300: 0B2B2B17
	v_mul_f32_e32 v150, v23, v150                              // 000000007304: 0B2D2D17
	v_mul_f32_e32 v151, v23, v151                              // 000000007308: 0B2F2F17
	v_cvt_i32_f32_e32 v148, v148                               // 00000000730C: 7F281194
	v_cvt_i32_f32_e32 v149, v149                               // 000000007310: 7F2A1195
	v_cvt_i32_f32_e32 v150, v150                               // 000000007314: 7F2C1196
	v_cvt_i32_f32_e32 v151, v151                               // 000000007318: 7F2E1197
	v_perm_b32 v133, v149, v148, s53                           // 00000000731C: D1ED0085 00D72995
	v_perm_b32 v133, v150, v133, s54                           // 000000007324: D1ED0085 00DB0B96
	v_perm_b32 v133, v151, v133, s55                           // 00000000732C: D1ED0085 00DF0B97
	v_mul_f32_e32 v152, v22, v152                              // 000000007334: 0B313116
	v_mul_f32_e32 v153, v22, v153                              // 000000007338: 0B333316
	v_mul_f32_e32 v154, v22, v154                              // 00000000733C: 0B353516
	v_mul_f32_e32 v155, v22, v155                              // 000000007340: 0B373716
	v_cvt_i32_f32_e32 v152, v152                               // 000000007344: 7F301198
	v_cvt_i32_f32_e32 v153, v153                               // 000000007348: 7F321199
	v_cvt_i32_f32_e32 v154, v154                               // 00000000734C: 7F34119A
	v_cvt_i32_f32_e32 v155, v155                               // 000000007350: 7F36119B
	v_perm_b32 v134, v153, v152, s53                           // 000000007354: D1ED0086 00D73199
	v_perm_b32 v134, v154, v134, s54                           // 00000000735C: D1ED0086 00DB0D9A
	v_perm_b32 v134, v155, v134, s55                           // 000000007364: D1ED0086 00DF0D9B
	v_mul_f32_e32 v156, v23, v156                              // 00000000736C: 0B393917
	v_mul_f32_e32 v157, v23, v157                              // 000000007370: 0B3B3B17
	v_mul_f32_e32 v158, v23, v158                              // 000000007374: 0B3D3D17
	v_mul_f32_e32 v159, v23, v159                              // 000000007378: 0B3F3F17
	v_cvt_i32_f32_e32 v156, v156                               // 00000000737C: 7F38119C
	v_cvt_i32_f32_e32 v157, v157                               // 000000007380: 7F3A119D
	v_cvt_i32_f32_e32 v158, v158                               // 000000007384: 7F3C119E
	v_cvt_i32_f32_e32 v159, v159                               // 000000007388: 7F3E119F
	v_perm_b32 v135, v157, v156, s53                           // 00000000738C: D1ED0087 00D7399D
	v_perm_b32 v135, v158, v135, s54                           // 000000007394: D1ED0087 00DB0F9E
	v_perm_b32 v135, v159, v135, s55                           // 00000000739C: D1ED0087 00DF0F9F
	v_mul_f32_e32 v160, v22, v160                              // 0000000073A4: 0B414116
	v_mul_f32_e32 v161, v22, v161                              // 0000000073A8: 0B434316
	v_mul_f32_e32 v162, v22, v162                              // 0000000073AC: 0B454516
	v_mul_f32_e32 v163, v22, v163                              // 0000000073B0: 0B474716
	v_cvt_i32_f32_e32 v160, v160                               // 0000000073B4: 7F4011A0
	v_cvt_i32_f32_e32 v161, v161                               // 0000000073B8: 7F4211A1
	v_cvt_i32_f32_e32 v162, v162                               // 0000000073BC: 7F4411A2
	v_cvt_i32_f32_e32 v163, v163                               // 0000000073C0: 7F4611A3
	v_perm_b32 v136, v161, v160, s53                           // 0000000073C4: D1ED0088 00D741A1
	v_perm_b32 v136, v162, v136, s54                           // 0000000073CC: D1ED0088 00DB11A2
	v_perm_b32 v136, v163, v136, s55                           // 0000000073D4: D1ED0088 00DF11A3
	v_mul_f32_e32 v164, v23, v164                              // 0000000073DC: 0B494917
	v_mul_f32_e32 v165, v23, v165                              // 0000000073E0: 0B4B4B17
	v_mul_f32_e32 v166, v23, v166                              // 0000000073E4: 0B4D4D17
	v_mul_f32_e32 v167, v23, v167                              // 0000000073E8: 0B4F4F17
	v_cvt_i32_f32_e32 v164, v164                               // 0000000073EC: 7F4811A4
	v_cvt_i32_f32_e32 v165, v165                               // 0000000073F0: 7F4A11A5
	v_cvt_i32_f32_e32 v166, v166                               // 0000000073F4: 7F4C11A6
	v_cvt_i32_f32_e32 v167, v167                               // 0000000073F8: 7F4E11A7
	v_perm_b32 v137, v165, v164, s53                           // 0000000073FC: D1ED0089 00D749A5
	v_perm_b32 v137, v166, v137, s54                           // 000000007404: D1ED0089 00DB13A6
	v_perm_b32 v137, v167, v137, s55                           // 00000000740C: D1ED0089 00DF13A7
	v_mul_f32_e32 v168, v22, v168                              // 000000007414: 0B515116
	v_mul_f32_e32 v169, v22, v169                              // 000000007418: 0B535316
	v_mul_f32_e32 v170, v22, v170                              // 00000000741C: 0B555516
	v_mul_f32_e32 v171, v22, v171                              // 000000007420: 0B575716
	v_cvt_i32_f32_e32 v168, v168                               // 000000007424: 7F5011A8
	v_cvt_i32_f32_e32 v169, v169                               // 000000007428: 7F5211A9
	v_cvt_i32_f32_e32 v170, v170                               // 00000000742C: 7F5411AA
	v_cvt_i32_f32_e32 v171, v171                               // 000000007430: 7F5611AB
	v_perm_b32 v138, v169, v168, s53                           // 000000007434: D1ED008A 00D751A9
	v_perm_b32 v138, v170, v138, s54                           // 00000000743C: D1ED008A 00DB15AA
	v_perm_b32 v138, v171, v138, s55                           // 000000007444: D1ED008A 00DF15AB
	v_mul_f32_e32 v172, v23, v172                              // 00000000744C: 0B595917
	v_mul_f32_e32 v173, v23, v173                              // 000000007450: 0B5B5B17
	v_mul_f32_e32 v174, v23, v174                              // 000000007454: 0B5D5D17
	v_mul_f32_e32 v175, v23, v175                              // 000000007458: 0B5F5F17
	v_cvt_i32_f32_e32 v172, v172                               // 00000000745C: 7F5811AC
	v_cvt_i32_f32_e32 v173, v173                               // 000000007460: 7F5A11AD
	v_cvt_i32_f32_e32 v174, v174                               // 000000007464: 7F5C11AE
	v_cvt_i32_f32_e32 v175, v175                               // 000000007468: 7F5E11AF
	v_perm_b32 v139, v173, v172, s53                           // 00000000746C: D1ED008B 00D759AD
	v_perm_b32 v139, v174, v139, s54                           // 000000007474: D1ED008B 00DB17AE
	v_perm_b32 v139, v175, v139, s55                           // 00000000747C: D1ED008B 00DF17AF
	v_rcp_f32_e32 v24, v22                                     // 000000007484: 7E304516
	v_rcp_f32_e32 v25, v23                                     // 000000007488: 7E324517
	v_lshrrev_b32_e32 v42, 5, v0                               // 00000000748C: 20540085
	v_lshlrev_b32_e32 v43, 5, v42                              // 000000007490: 24565485
	v_and_b32_e32 v42, 31, v0                                  // 000000007494: 2654009F
	v_lshrrev_b32_e32 v44, 4, v42                              // 000000007498: 20585484
	v_add_u32_e32 v43, v44, v43                                // 00000000749C: 6856572C
	v_and_b32_e32 v42, 15, v0                                  // 0000000074A0: 2654008F
	v_lshlrev_b32_e32 v42, 1, v42                              // 0000000074A4: 24545481
	v_add_u32_e32 v43, v42, v43                                // 0000000074A8: 6856572A
	v_lshlrev_b32_e32 v42, 2, v43                              // 0000000074AC: 24545682
	s_mul_i32 s60, 0x100, s5                                   // 0000000074B0: 923C05FF 00000100
	v_add_u32_e64 v42, v42, s60                                // 0000000074B8: D134002A 0000792A
	ds_write_b32 v42, v128 offset:2048                         // 0000000074C0: D81A0800 0000802A
	ds_write_b32 v42, v129 offset:8192                         // 0000000074C8: D81A2000 0000812A
	ds_write_b32 v42, v130 offset:3072                         // 0000000074D0: D81A0C00 0000822A
	ds_write_b32 v42, v131 offset:9216                         // 0000000074D8: D81A2400 0000832A
	ds_write_b32 v42, v132 offset:4096                         // 0000000074E0: D81A1000 0000842A
	ds_write_b32 v42, v133 offset:10240                        // 0000000074E8: D81A2800 0000852A
	ds_write_b32 v42, v134 offset:5120                         // 0000000074F0: D81A1400 0000862A
	ds_write_b32 v42, v135 offset:11264                        // 0000000074F8: D81A2C00 0000872A
	ds_write_b32 v42, v136 offset:6144                         // 000000007500: D81A1800 0000882A
	ds_write_b32 v42, v137 offset:12288                        // 000000007508: D81A3000 0000892A
	ds_write_b32 v42, v138 offset:7168                         // 000000007510: D81A1C00 00008A2A
	ds_write_b32 v42, v139 offset:13312                        // 000000007518: D81A3400 00008B2A
	s_waitcnt lgkmcnt(0)                                       // 000000007520: BF8CC07F
	s_barrier                                                  // 000000007524: BF8A0000
	v_lshrrev_b32_e32 v42, 4, v0                               // 000000007528: 20540084
	v_lshlrev_b32_e32 v43, 6, v42                              // 00000000752C: 24565486
	v_and_b32_e32 v42, 15, v0                                  // 000000007530: 2654008F
	v_lshlrev_b32_e32 v42, 1, v42                              // 000000007534: 24545481
	v_add_u32_e32 v43, v42, v43                                // 000000007538: 6856572A
	v_lshlrev_b32_e32 v42, 2, v43                              // 00000000753C: 24545682
	ds_read_b64 v[128:129], v42 offset:2048                    // 000000007540: D8EC0800 8000002A
	ds_read_b64 v[130:131], v42 offset:2176                    // 000000007548: D8EC0880 8200002A
	ds_read_b64 v[132:133], v42 offset:3072                    // 000000007550: D8EC0C00 8400002A
	ds_read_b64 v[134:135], v42 offset:3200                    // 000000007558: D8EC0C80 8600002A
	ds_read_b64 v[136:137], v42 offset:4096                    // 000000007560: D8EC1000 8800002A
	ds_read_b64 v[138:139], v42 offset:4224                    // 000000007568: D8EC1080 8A00002A
	ds_read_b64 v[140:141], v42 offset:5120                    // 000000007570: D8EC1400 8C00002A
	ds_read_b64 v[142:143], v42 offset:5248                    // 000000007578: D8EC1480 8E00002A
	ds_read_b64 v[144:145], v42 offset:6144                    // 000000007580: D8EC1800 9000002A
	ds_read_b64 v[146:147], v42 offset:6272                    // 000000007588: D8EC1880 9200002A
	ds_read_b64 v[148:149], v42 offset:7168                    // 000000007590: D8EC1C00 9400002A
	ds_read_b64 v[150:151], v42 offset:7296                    // 000000007598: D8EC1C80 9600002A
	ds_read_b64 v[152:153], v42 offset:8192                    // 0000000075A0: D8EC2000 9800002A
	ds_read_b64 v[154:155], v42 offset:8320                    // 0000000075A8: D8EC2080 9A00002A
	ds_read_b64 v[156:157], v42 offset:9216                    // 0000000075B0: D8EC2400 9C00002A
	ds_read_b64 v[158:159], v42 offset:9344                    // 0000000075B8: D8EC2480 9E00002A
	ds_read_b64 v[160:161], v42 offset:10240                   // 0000000075C0: D8EC2800 A000002A
	ds_read_b64 v[162:163], v42 offset:10368                   // 0000000075C8: D8EC2880 A200002A
	ds_read_b64 v[164:165], v42 offset:11264                   // 0000000075D0: D8EC2C00 A400002A
	ds_read_b64 v[166:167], v42 offset:11392                   // 0000000075D8: D8EC2C80 A600002A
	ds_read_b64 v[168:169], v42 offset:12288                   // 0000000075E0: D8EC3000 A800002A
	ds_read_b64 v[170:171], v42 offset:12416                   // 0000000075E8: D8EC3080 AA00002A
	ds_read_b64 v[172:173], v42 offset:13312                   // 0000000075F0: D8EC3400 AC00002A
	ds_read_b64 v[174:175], v42 offset:13440                   // 0000000075F8: D8EC3480 AE00002A
	s_add_u32 s12, s56, s12                                    // 000000007600: 800C0C38
	s_addc_u32 s13, 0, s13                                     // 000000007604: 820D0D80
	s_add_u32 s16, s79, s16                                    // 000000007608: 8010104F
	s_addc_u32 s17, 0, s17                                     // 00000000760C: 82111180
	s_waitcnt lgkmcnt(0)                                       // 000000007610: BF8CC07F
	s_barrier                                                  // 000000007614: BF8A0000
	v_mov_b32_e32 v176, 0                                      // 000000007618: 7F600280
	v_mov_b32_e32 v208, 0                                      // 00000000761C: 7FA00280
	v_mov_b32_e32 v177, 0                                      // 000000007620: 7F620280
	v_mov_b32_e32 v209, 0                                      // 000000007624: 7FA20280
	v_mov_b32_e32 v178, 0                                      // 000000007628: 7F640280
	v_mov_b32_e32 v210, 0                                      // 00000000762C: 7FA40280
	v_mov_b32_e32 v179, 0                                      // 000000007630: 7F660280
	v_mov_b32_e32 v211, 0                                      // 000000007634: 7FA60280
	v_mov_b32_e32 v180, 0                                      // 000000007638: 7F680280
	v_mov_b32_e32 v212, 0                                      // 00000000763C: 7FA80280
	v_mov_b32_e32 v181, 0                                      // 000000007640: 7F6A0280
	v_mov_b32_e32 v213, 0                                      // 000000007644: 7FAA0280
	v_mov_b32_e32 v182, 0                                      // 000000007648: 7F6C0280
	v_mov_b32_e32 v214, 0                                      // 00000000764C: 7FAC0280
	v_mov_b32_e32 v183, 0                                      // 000000007650: 7F6E0280
	v_mov_b32_e32 v215, 0                                      // 000000007654: 7FAE0280
	v_mov_b32_e32 v184, 0                                      // 000000007658: 7F700280
	v_mov_b32_e32 v216, 0                                      // 00000000765C: 7FB00280
	v_mov_b32_e32 v185, 0                                      // 000000007660: 7F720280
	v_mov_b32_e32 v217, 0                                      // 000000007664: 7FB20280
	v_mov_b32_e32 v186, 0                                      // 000000007668: 7F740280
	v_mov_b32_e32 v218, 0                                      // 00000000766C: 7FB40280
	v_mov_b32_e32 v187, 0                                      // 000000007670: 7F760280
	v_mov_b32_e32 v219, 0                                      // 000000007674: 7FB60280
	v_mov_b32_e32 v188, 0                                      // 000000007678: 7F780280
	v_mov_b32_e32 v220, 0                                      // 00000000767C: 7FB80280
	v_mov_b32_e32 v189, 0                                      // 000000007680: 7F7A0280
	v_mov_b32_e32 v221, 0                                      // 000000007684: 7FBA0280
	v_mov_b32_e32 v190, 0                                      // 000000007688: 7F7C0280
	v_mov_b32_e32 v222, 0                                      // 00000000768C: 7FBC0280
	v_mov_b32_e32 v191, 0                                      // 000000007690: 7F7E0280
	v_mov_b32_e32 v223, 0                                      // 000000007694: 7FBE0280
	ds_write_b64 v3, v[176:177] offset:2048                    // 000000007698: D89A0800 0000B003
	ds_write_b64 v3, v[178:179] offset:10752                   // 0000000076A0: D89A2A00 0000B203
	ds_write_b64 v3, v[180:181] offset:4224                    // 0000000076A8: D89A1080 0000B403
	ds_write_b64 v3, v[182:183] offset:12928                   // 0000000076B0: D89A3280 0000B603
	ds_write_b64 v3, v[184:185] offset:6400                    // 0000000076B8: D89A1900 0000B803
	ds_write_b64 v3, v[186:187] offset:15104                   // 0000000076C0: D89A3B00 0000BA03
	ds_write_b64 v3, v[188:189] offset:8576                    // 0000000076C8: D89A2180 0000BC03
	ds_write_b64 v3, v[190:191] offset:17280                   // 0000000076D0: D89A4380 0000BE03
	s_mov_b32 s80, 0                                           // 0000000076D8: BED00080
	s_waitcnt vmcnt(0) expcnt(0) lgkmcnt(0)                    // 0000000076DC: BF8C0000

00000000000076e0 <label_1238>:
	s_waitcnt vmcnt(21) lgkmcnt(0)                             // 0000000076E0: BF8C4075
	s_barrier                                                  // 0000000076E4: BF8A0000
	v_mfma_i32_16x16x32_i8 v[176:179], a[0:1], v[128:129], 0   // 0000000076E8: D3D700B0 0A030100
	ds_read_b32 v64, v4 offset:2048                            // 0000000076F0: D86C0800 40000004
	ds_read_b32 v65, v4 offset:6400                            // 0000000076F8: D86C1900 41000004
	v_mfma_i32_16x16x32_i8 v[176:179], a[2:3], v[130:131], v[176:179]// 000000007700: D3D700B0 0EC30502
	buffer_load_dwordx4 a[96:99], v46, s[12:15], 0 offen       // 000000007708: E05C1000 8083602E
	v_mfma_i32_16x16x32_i8 v[180:183], a[0:1], v[152:153], 0   // 000000007710: D3D700B4 0A033100
	ds_read_b32 v66, v4 offset:2080                            // 000000007718: D86C0820 42000004
	ds_read_b32 v67, v4 offset:6432                            // 000000007720: D86C1920 43000004
	v_mfma_i32_16x16x32_i8 v[180:183], a[2:3], v[154:155], v[180:183]// 000000007728: D3D700B4 0ED33502
	v_mfma_i32_16x16x32_i8 v[184:187], a[4:5], v[128:129], 0   // 000000007730: D3D700B8 0A030104
	ds_read_b32 v68, v4 offset:2112                            // 000000007738: D86C0840 44000004
	ds_read_b32 v69, v4 offset:6464                            // 000000007740: D86C1940 45000004
	v_mfma_i32_16x16x32_i8 v[184:187], a[6:7], v[130:131], v[184:187]// 000000007748: D3D700B8 0EE30506
	buffer_load_dwordx4 a[100:103], v47, s[12:15], 0 offen     // 000000007750: E05C1000 8083642F
	v_mfma_i32_16x16x32_i8 v[188:191], a[4:5], v[152:153], 0   // 000000007758: D3D700BC 0A033104
	ds_read_b32 v70, v4 offset:2144                            // 000000007760: D86C0860 46000004
	ds_read_b32 v71, v4 offset:6496                            // 000000007768: D86C1960 47000004
	v_mfma_i32_16x16x32_i8 v[188:191], a[6:7], v[154:155], v[188:191]// 000000007770: D3D700BC 0EF33506
	v_mfma_i32_16x16x32_i8 v[192:195], a[8:9], v[128:129], 0   // 000000007778: D3D700C0 0A030108
	ds_read_b32 v72, v4 offset:10752                           // 000000007780: D86C2A00 48000004
	ds_read_b32 v73, v4 offset:15104                           // 000000007788: D86C3B00 49000004
	v_mfma_i32_16x16x32_i8 v[192:195], a[10:11], v[130:131], v[192:195]// 000000007790: D3D700C0 0F03050A
	buffer_load_dwordx4 a[104:107], v48, s[12:15], 0 offen     // 000000007798: E05C1000 80836830
	v_mfma_i32_16x16x32_i8 v[196:199], a[8:9], v[152:153], 0   // 0000000077A0: D3D700C4 0A033108
	ds_read_b32 v74, v4 offset:10784                           // 0000000077A8: D86C2A20 4A000004
	ds_read_b32 v75, v4 offset:15136                           // 0000000077B0: D86C3B20 4B000004
	v_mfma_i32_16x16x32_i8 v[196:199], a[10:11], v[154:155], v[196:199]// 0000000077B8: D3D700C4 0F13350A
	v_mfma_i32_16x16x32_i8 v[200:203], a[12:13], v[128:129], 0 // 0000000077C0: D3D700C8 0A03010C
	ds_read_b32 v76, v4 offset:10816                           // 0000000077C8: D86C2A40 4C000004
	ds_read_b32 v77, v4 offset:15168                           // 0000000077D0: D86C3B40 4D000004
	v_mfma_i32_16x16x32_i8 v[200:203], a[14:15], v[130:131], v[200:203]// 0000000077D8: D3D700C8 0F23050E
	buffer_load_dwordx4 a[108:111], v49, s[12:15], 0 offen     // 0000000077E0: E05C1000 80836C31
	s_add_u32 s12, s78, s12                                    // 0000000077E8: 800C0C4E
	s_addc_u32 s13, 0, s13                                     // 0000000077EC: 820D0D80
	v_mfma_i32_16x16x32_i8 v[204:207], a[12:13], v[152:153], 0 // 0000000077F0: D3D700CC 0A03310C
	ds_read_b32 v78, v4 offset:10848                           // 0000000077F8: D86C2A60 4E000004
	ds_read_b32 v79, v4 offset:15200                           // 000000007800: D86C3B60 4F000004
	v_mfma_i32_16x16x32_i8 v[204:207], a[14:15], v[154:155], v[204:207]// 000000007808: D3D700CC 0F33350E
	s_waitcnt vmcnt(21)                                        // 000000007810: BF8C4F75
	v_mfma_i32_16x16x32_i8 v[176:179], a[16:17], v[132:133], v[176:179]// 000000007814: D3D700B0 0EC30910
	v_mfma_i32_16x16x32_i8 v[176:179], a[18:19], v[134:135], v[176:179]// 00000000781C: D3D700B0 0EC30D12
	buffer_load_dwordx4 a[112:115], v46, s[12:15], 0 offen     // 000000007824: E05C1000 8083702E
	v_mfma_i32_16x16x32_i8 v[180:183], a[16:17], v[156:157], v[180:183]// 00000000782C: D3D700B4 0ED33910
	v_mfma_i32_16x16x32_i8 v[180:183], a[18:19], v[158:159], v[180:183]// 000000007834: D3D700B4 0ED33D12
	v_mfma_i32_16x16x32_i8 v[184:187], a[20:21], v[132:133], v[184:187]// 00000000783C: D3D700B8 0EE30914
	v_mfma_i32_16x16x32_i8 v[184:187], a[22:23], v[134:135], v[184:187]// 000000007844: D3D700B8 0EE30D16
	buffer_load_dwordx4 a[116:119], v47, s[12:15], 0 offen     // 00000000784C: E05C1000 8083742F
	v_mfma_i32_16x16x32_i8 v[188:191], a[20:21], v[156:157], v[188:191]// 000000007854: D3D700BC 0EF33914
	v_mfma_i32_16x16x32_i8 v[188:191], a[22:23], v[158:159], v[188:191]// 00000000785C: D3D700BC 0EF33D16
	v_mfma_i32_16x16x32_i8 v[192:195], a[24:25], v[132:133], v[192:195]// 000000007864: D3D700C0 0F030918
	v_mfma_i32_16x16x32_i8 v[192:195], a[26:27], v[134:135], v[192:195]// 00000000786C: D3D700C0 0F030D1A
	buffer_load_dwordx4 a[120:123], v48, s[12:15], 0 offen     // 000000007874: E05C1000 80837830
	v_mfma_i32_16x16x32_i8 v[196:199], a[24:25], v[156:157], v[196:199]// 00000000787C: D3D700C4 0F133918
	v_mfma_i32_16x16x32_i8 v[196:199], a[26:27], v[158:159], v[196:199]// 000000007884: D3D700C4 0F133D1A
	v_mfma_i32_16x16x32_i8 v[200:203], a[28:29], v[132:133], v[200:203]// 00000000788C: D3D700C8 0F23091C
	v_mfma_i32_16x16x32_i8 v[200:203], a[30:31], v[134:135], v[200:203]// 000000007894: D3D700C8 0F230D1E
	buffer_load_dwordx4 a[124:127], v49, s[12:15], 0 offen     // 00000000789C: E05C1000 80837C31
	s_add_u32 s12, s78, s12                                    // 0000000078A4: 800C0C4E
	s_addc_u32 s13, 0, s13                                     // 0000000078A8: 820D0D80
	v_mfma_i32_16x16x32_i8 v[204:207], a[28:29], v[156:157], v[204:207]// 0000000078AC: D3D700CC 0F33391C
	v_mfma_i32_16x16x32_i8 v[204:207], a[30:31], v[158:159], v[204:207]// 0000000078B4: D3D700CC 0F333D1E
	s_waitcnt vmcnt(21)                                        // 0000000078BC: BF8C4F75
	v_mfma_i32_16x16x32_i8 v[176:179], a[32:33], v[136:137], v[176:179]// 0000000078C0: D3D700B0 0EC31120
	ds_write_b64 v3, v[208:209] offset:19456                   // 0000000078C8: D89A4C00 0000D003
	v_mfma_i32_16x16x32_i8 v[176:179], a[34:35], v[138:139], v[176:179]// 0000000078D0: D3D700B0 0EC31522
	buffer_load_dwordx4 a[128:131], v46, s[12:15], 0 offen     // 0000000078D8: E05C1000 8083802E
	v_mfma_i32_16x16x32_i8 v[180:183], a[32:33], v[160:161], v[180:183]// 0000000078E0: D3D700B4 0ED34120
	ds_write_b64 v3, v[210:211] offset:28160                   // 0000000078E8: D89A6E00 0000D203
	v_mfma_i32_16x16x32_i8 v[180:183], a[34:35], v[162:163], v[180:183]// 0000000078F0: D3D700B4 0ED34522
	v_mfma_i32_16x16x32_i8 v[184:187], a[36:37], v[136:137], v[184:187]// 0000000078F8: D3D700B8 0EE31124
	ds_write_b64 v3, v[212:213] offset:21632                   // 000000007900: D89A5480 0000D403
	v_mfma_i32_16x16x32_i8 v[184:187], a[38:39], v[138:139], v[184:187]// 000000007908: D3D700B8 0EE31526
	buffer_load_dwordx4 a[132:135], v47, s[12:15], 0 offen     // 000000007910: E05C1000 8083842F
	v_mfma_i32_16x16x32_i8 v[188:191], a[36:37], v[160:161], v[188:191]// 000000007918: D3D700BC 0EF34124
	ds_write_b64 v3, v[214:215] offset:30336                   // 000000007920: D89A7680 0000D603
	v_mfma_i32_16x16x32_i8 v[188:191], a[38:39], v[162:163], v[188:191]// 000000007928: D3D700BC 0EF34526
	v_mfma_i32_16x16x32_i8 v[192:195], a[40:41], v[136:137], v[192:195]// 000000007930: D3D700C0 0F031128
	ds_write_b64 v3, v[216:217] offset:23808                   // 000000007938: D89A5D00 0000D803
	v_mfma_i32_16x16x32_i8 v[192:195], a[42:43], v[138:139], v[192:195]// 000000007940: D3D700C0 0F03152A
	buffer_load_dwordx4 a[136:139], v48, s[12:15], 0 offen     // 000000007948: E05C1000 80838830
	v_mfma_i32_16x16x32_i8 v[196:199], a[40:41], v[160:161], v[196:199]// 000000007950: D3D700C4 0F134128
	ds_write_b64 v3, v[218:219] offset:32512                   // 000000007958: D89A7F00 0000DA03
	v_mfma_i32_16x16x32_i8 v[196:199], a[42:43], v[162:163], v[196:199]// 000000007960: D3D700C4 0F13452A
	v_mfma_i32_16x16x32_i8 v[200:203], a[44:45], v[136:137], v[200:203]// 000000007968: D3D700C8 0F23112C
	ds_write_b64 v3, v[220:221] offset:25984                   // 000000007970: D89A6580 0000DC03
	v_mfma_i32_16x16x32_i8 v[200:203], a[46:47], v[138:139], v[200:203]// 000000007978: D3D700C8 0F23152E
	buffer_load_dwordx4 a[140:143], v49, s[12:15], 0 offen     // 000000007980: E05C1000 80838C31
	s_add_u32 s12, s78, s12                                    // 000000007988: 800C0C4E
	s_addc_u32 s13, 0, s13                                     // 00000000798C: 820D0D80
	v_mfma_i32_16x16x32_i8 v[204:207], a[44:45], v[160:161], v[204:207]// 000000007990: D3D700CC 0F33412C
	ds_write_b64 v3, v[222:223] offset:34688                   // 000000007998: D89A8780 0000DE03
	v_mfma_i32_16x16x32_i8 v[204:207], a[46:47], v[162:163], v[204:207]// 0000000079A0: D3D700CC 0F33452E
	s_waitcnt vmcnt(21)                                        // 0000000079A8: BF8C4F75
	v_mfma_i32_16x16x32_i8 v[176:179], a[48:49], v[140:141], v[176:179]// 0000000079AC: D3D700B0 0EC31930
	v_mfma_i32_16x16x32_i8 v[176:179], a[50:51], v[142:143], v[176:179]// 0000000079B4: D3D700B0 0EC31D32
	buffer_load_dwordx4 a[144:147], v46, s[12:15], 0 offen     // 0000000079BC: E05C1000 8083902E
	v_mfma_i32_16x16x32_i8 v[180:183], a[48:49], v[164:165], v[180:183]// 0000000079C4: D3D700B4 0ED34930
	v_mfma_i32_16x16x32_i8 v[180:183], a[50:51], v[166:167], v[180:183]// 0000000079CC: D3D700B4 0ED34D32
	v_mfma_i32_16x16x32_i8 v[184:187], a[52:53], v[140:141], v[184:187]// 0000000079D4: D3D700B8 0EE31934
	v_mfma_i32_16x16x32_i8 v[184:187], a[54:55], v[142:143], v[184:187]// 0000000079DC: D3D700B8 0EE31D36
	buffer_load_dwordx4 a[148:151], v47, s[12:15], 0 offen     // 0000000079E4: E05C1000 8083942F
	v_mfma_i32_16x16x32_i8 v[188:191], a[52:53], v[164:165], v[188:191]// 0000000079EC: D3D700BC 0EF34934
	v_mfma_i32_16x16x32_i8 v[188:191], a[54:55], v[166:167], v[188:191]// 0000000079F4: D3D700BC 0EF34D36
	v_mfma_i32_16x16x32_i8 v[192:195], a[56:57], v[140:141], v[192:195]// 0000000079FC: D3D700C0 0F031938
	v_mfma_i32_16x16x32_i8 v[192:195], a[58:59], v[142:143], v[192:195]// 000000007A04: D3D700C0 0F031D3A
	buffer_load_dwordx4 a[152:155], v48, s[12:15], 0 offen     // 000000007A0C: E05C1000 80839830
	v_mfma_i32_16x16x32_i8 v[196:199], a[56:57], v[164:165], v[196:199]// 000000007A14: D3D700C4 0F134938
	v_mfma_i32_16x16x32_i8 v[196:199], a[58:59], v[166:167], v[196:199]// 000000007A1C: D3D700C4 0F134D3A
	v_mfma_i32_16x16x32_i8 v[200:203], a[60:61], v[140:141], v[200:203]// 000000007A24: D3D700C8 0F23193C
	v_mfma_i32_16x16x32_i8 v[200:203], a[62:63], v[142:143], v[200:203]// 000000007A2C: D3D700C8 0F231D3E
	buffer_load_dwordx4 a[156:159], v49, s[12:15], 0 offen     // 000000007A34: E05C1000 80839C31
	s_add_u32 s12, s78, s12                                    // 000000007A3C: 800C0C4E
	s_addc_u32 s13, 0, s13                                     // 000000007A40: 820D0D80
	v_mfma_i32_16x16x32_i8 v[204:207], a[60:61], v[164:165], v[204:207]// 000000007A44: D3D700CC 0F33493C
	v_mfma_i32_16x16x32_i8 v[204:207], a[62:63], v[166:167], v[204:207]// 000000007A4C: D3D700CC 0F334D3E
	s_waitcnt vmcnt(21)                                        // 000000007A54: BF8C4F75
	v_mfma_i32_16x16x32_i8 v[176:179], a[64:65], v[144:145], v[176:179]// 000000007A58: D3D700B0 0EC32140
	v_mfma_i32_16x16x32_i8 v[176:179], a[66:67], v[146:147], v[176:179]// 000000007A60: D3D700B0 0EC32542
	buffer_load_dwordx4 a[160:163], v46, s[12:15], 0 offen     // 000000007A68: E05C1000 8083A02E
	v_mfma_i32_16x16x32_i8 v[180:183], a[64:65], v[168:169], v[180:183]// 000000007A70: D3D700B4 0ED35140
	v_mfma_i32_16x16x32_i8 v[180:183], a[66:67], v[170:171], v[180:183]// 000000007A78: D3D700B4 0ED35542
	v_mfma_i32_16x16x32_i8 v[184:187], a[68:69], v[144:145], v[184:187]// 000000007A80: D3D700B8 0EE32144
	v_mfma_i32_16x16x32_i8 v[184:187], a[70:71], v[146:147], v[184:187]// 000000007A88: D3D700B8 0EE32546
	buffer_load_dwordx4 a[164:167], v47, s[12:15], 0 offen     // 000000007A90: E05C1000 8083A42F
	v_mfma_i32_16x16x32_i8 v[188:191], a[68:69], v[168:169], v[188:191]// 000000007A98: D3D700BC 0EF35144
	v_mfma_i32_16x16x32_i8 v[188:191], a[70:71], v[170:171], v[188:191]// 000000007AA0: D3D700BC 0EF35546
	v_mfma_i32_16x16x32_i8 v[192:195], a[72:73], v[144:145], v[192:195]// 000000007AA8: D3D700C0 0F032148
	v_mfma_i32_16x16x32_i8 v[192:195], a[74:75], v[146:147], v[192:195]// 000000007AB0: D3D700C0 0F03254A
	buffer_load_dwordx4 a[168:171], v48, s[12:15], 0 offen     // 000000007AB8: E05C1000 8083A830
	v_mfma_i32_16x16x32_i8 v[196:199], a[72:73], v[168:169], v[196:199]// 000000007AC0: D3D700C4 0F135148
	v_mfma_i32_16x16x32_i8 v[196:199], a[74:75], v[170:171], v[196:199]// 000000007AC8: D3D700C4 0F13554A
	v_mfma_i32_16x16x32_i8 v[200:203], a[76:77], v[144:145], v[200:203]// 000000007AD0: D3D700C8 0F23214C
	v_mfma_i32_16x16x32_i8 v[200:203], a[78:79], v[146:147], v[200:203]// 000000007AD8: D3D700C8 0F23254E
	buffer_load_dwordx4 a[172:175], v49, s[12:15], 0 offen     // 000000007AE0: E05C1000 8083AC31
	s_add_u32 s12, s78, s12                                    // 000000007AE8: 800C0C4E
	s_addc_u32 s13, 0, s13                                     // 000000007AEC: 820D0D80
	v_mfma_i32_16x16x32_i8 v[204:207], a[76:77], v[168:169], v[204:207]// 000000007AF0: D3D700CC 0F33514C
	v_mfma_i32_16x16x32_i8 v[204:207], a[78:79], v[170:171], v[204:207]// 000000007AF8: D3D700CC 0F33554E
	s_waitcnt vmcnt(20)                                        // 000000007B00: BF8C4F74
	v_mfma_i32_16x16x32_i8 v[176:179], a[80:81], v[148:149], v[176:179]// 000000007B04: D3D700B0 0EC32950
	v_mfma_i32_16x16x32_i8 v[176:179], a[82:83], v[150:151], v[176:179]// 000000007B0C: D3D700B0 0EC32D52
	buffer_load_dwordx4 a[176:179], v46, s[12:15], 0 offen     // 000000007B14: E05C1000 8083B02E
	v_mfma_i32_16x16x32_i8 v[180:183], a[80:81], v[172:173], v[180:183]// 000000007B1C: D3D700B4 0ED35950
	v_mfma_i32_16x16x32_i8 v[180:183], a[82:83], v[174:175], v[180:183]// 000000007B24: D3D700B4 0ED35D52
	buffer_load_dword v13, v5, s[16:19], 0 offen               // 000000007B2C: E0501000 80040D05
	v_mfma_i32_16x16x32_i8 v[184:187], a[84:85], v[148:149], v[184:187]// 000000007B34: D3D700B8 0EE32954
	v_mfma_i32_16x16x32_i8 v[184:187], a[86:87], v[150:151], v[184:187]// 000000007B3C: D3D700B8 0EE32D56
	buffer_load_dwordx4 a[180:183], v47, s[12:15], 0 offen     // 000000007B44: E05C1000 8083B42F
	v_mfma_i32_16x16x32_i8 v[188:191], a[84:85], v[172:173], v[188:191]// 000000007B4C: D3D700BC 0EF35954
	v_mfma_i32_16x16x32_i8 v[188:191], a[86:87], v[174:175], v[188:191]// 000000007B54: D3D700BC 0EF35D56
	v_mfma_i32_16x16x32_i8 v[192:195], a[88:89], v[148:149], v[192:195]// 000000007B5C: D3D700C0 0F032958
	v_mfma_i32_16x16x32_i8 v[192:195], a[90:91], v[150:151], v[192:195]// 000000007B64: D3D700C0 0F032D5A
	buffer_load_dwordx4 a[184:187], v48, s[12:15], 0 offen     // 000000007B6C: E05C1000 8083B830
	v_mfma_i32_16x16x32_i8 v[196:199], a[88:89], v[172:173], v[196:199]// 000000007B74: D3D700C4 0F135958
	v_mfma_i32_16x16x32_i8 v[196:199], a[90:91], v[174:175], v[196:199]// 000000007B7C: D3D700C4 0F135D5A
	v_mfma_i32_16x16x32_i8 v[200:203], a[92:93], v[148:149], v[200:203]// 000000007B84: D3D700C8 0F23295C
	v_mfma_i32_16x16x32_i8 v[200:203], a[94:95], v[150:151], v[200:203]// 000000007B8C: D3D700C8 0F232D5E
	buffer_load_dwordx4 a[188:191], v49, s[12:15], 0 offen     // 000000007B94: E05C1000 8083BC31
	v_mfma_i32_16x16x32_i8 v[204:207], a[92:93], v[172:173], v[204:207]// 000000007B9C: D3D700CC 0F33595C
	v_mfma_i32_16x16x32_i8 v[204:207], a[94:95], v[174:175], v[204:207]// 000000007BA4: D3D700CC 0F335D5E
	s_add_u32 s60, 0x200, s80                                  // 000000007BAC: 803C50FF 00000200
	s_cmp_lt_u32 s60, s81                                      // 000000007BB4: BF0A513C
	s_cselect_b32 s56, s56, 0                                  // 000000007BB8: 85388038
	s_cselect_b32 s78, s78, 0                                  // 000000007BBC: 854E804E
	s_cselect_b32 s79, s79, 0                                  // 000000007BC0: 854F804F
	s_add_u32 s12, s56, s12                                    // 000000007BC4: 800C0C38
	s_addc_u32 s13, 0, s13                                     // 000000007BC8: 820D0D80
	s_add_u32 s16, s79, s16                                    // 000000007BCC: 8010104F
	s_addc_u32 s17, 0, s17                                     // 000000007BD0: 82111180
	v_mov_b32_e32 v42, v24                                     // 000000007BD4: 7E540318
	v_mov_b32_e32 v44, v20                                     // 000000007BD8: 7E580314
	v_mov_b32_e32 v43, v42                                     // 000000007BDC: 7E56032A
	v_mov_b32_e32 v45, v44                                     // 000000007BE0: 7E5A032C
	v_cvt_f32_i32_e32 v176, v176                               // 000000007BE4: 7F600BB0
	v_cvt_f32_i32_e32 v177, v177                               // 000000007BE8: 7F620BB1
	v_cvt_f32_i32_e32 v178, v178                               // 000000007BEC: 7F640BB2
	v_cvt_f32_i32_e32 v179, v179                               // 000000007BF0: 7F660BB3
	v_pk_mul_f32 v[176:177], v[42:43], v[176:177]              // 000000007BF4: D3B140B0 1803612A
	v_pk_mul_f32 v[178:179], v[42:43], v[178:179]              // 000000007BFC: D3B140B2 1803652A
	v_mul_f32_dpp v176, v12, v176 row_newbcast:0 row_mask:0xf bank_mask:0xf// 000000007C04: 0B6160FA FF01500C
	v_mul_f32_dpp v177, v12, v177 row_newbcast:1 row_mask:0xf bank_mask:0xf// 000000007C0C: 0B6362FA FF01510C
	v_mul_f32_dpp v178, v12, v178 row_newbcast:2 row_mask:0xf bank_mask:0xf// 000000007C14: 0B6564FA FF01520C
	v_mul_f32_dpp v179, v12, v179 row_newbcast:3 row_mask:0xf bank_mask:0xf// 000000007C1C: 0B6766FA FF01530C
	v_pk_mul_f32 v[176:177], v[44:45], v[176:177]              // 000000007C24: D3B140B0 1803612C
	v_pk_mul_f32 v[178:179], v[44:45], v[178:179]              // 000000007C2C: D3B140B2 1803652C
	v_cvt_f32_i32_e32 v184, v184                               // 000000007C34: 7F700BB8
	v_cvt_f32_i32_e32 v185, v185                               // 000000007C38: 7F720BB9
	v_cvt_f32_i32_e32 v186, v186                               // 000000007C3C: 7F740BBA
	v_cvt_f32_i32_e32 v187, v187                               // 000000007C40: 7F760BBB
	v_pk_mul_f32 v[184:185], v[42:43], v[184:185]              // 000000007C44: D3B140B8 1803712A
	v_pk_mul_f32 v[186:187], v[42:43], v[186:187]              // 000000007C4C: D3B140BA 1803752A
	v_mul_f32_dpp v184, v12, v184 row_newbcast:4 row_mask:0xf bank_mask:0xf// 000000007C54: 0B7170FA FF01540C
	v_mul_f32_dpp v185, v12, v185 row_newbcast:5 row_mask:0xf bank_mask:0xf// 000000007C5C: 0B7372FA FF01550C
	v_mul_f32_dpp v186, v12, v186 row_newbcast:6 row_mask:0xf bank_mask:0xf// 000000007C64: 0B7574FA FF01560C
	v_mul_f32_dpp v187, v12, v187 row_newbcast:7 row_mask:0xf bank_mask:0xf// 000000007C6C: 0B7776FA FF01570C
	v_pk_mul_f32 v[184:185], v[44:45], v[184:185]              // 000000007C74: D3B140B8 1803712C
	v_pk_mul_f32 v[186:187], v[44:45], v[186:187]              // 000000007C7C: D3B140BA 1803752C
	v_cvt_f32_i32_e32 v192, v192                               // 000000007C84: 7F800BC0
	v_cvt_f32_i32_e32 v193, v193                               // 000000007C88: 7F820BC1
	v_cvt_f32_i32_e32 v194, v194                               // 000000007C8C: 7F840BC2
	v_cvt_f32_i32_e32 v195, v195                               // 000000007C90: 7F860BC3
	v_pk_mul_f32 v[192:193], v[42:43], v[192:193]              // 000000007C94: D3B140C0 1803812A
	v_pk_mul_f32 v[194:195], v[42:43], v[194:195]              // 000000007C9C: D3B140C2 1803852A
	v_mul_f32_dpp v192, v12, v192 row_newbcast:8 row_mask:0xf bank_mask:0xf// 000000007CA4: 0B8180FA FF01580C
	v_mul_f32_dpp v193, v12, v193 row_newbcast:9 row_mask:0xf bank_mask:0xf// 000000007CAC: 0B8382FA FF01590C
	v_mul_f32_dpp v194, v12, v194 row_newbcast:10 row_mask:0xf bank_mask:0xf// 000000007CB4: 0B8584FA FF015A0C
	v_mul_f32_dpp v195, v12, v195 row_newbcast:11 row_mask:0xf bank_mask:0xf// 000000007CBC: 0B8786FA FF015B0C
	v_pk_mul_f32 v[192:193], v[44:45], v[192:193]              // 000000007CC4: D3B140C0 1803812C
	v_pk_mul_f32 v[194:195], v[44:45], v[194:195]              // 000000007CCC: D3B140C2 1803852C
	v_cvt_f32_i32_e32 v200, v200                               // 000000007CD4: 7F900BC8
	v_cvt_f32_i32_e32 v201, v201                               // 000000007CD8: 7F920BC9
	v_cvt_f32_i32_e32 v202, v202                               // 000000007CDC: 7F940BCA
	v_cvt_f32_i32_e32 v203, v203                               // 000000007CE0: 7F960BCB
	v_pk_mul_f32 v[200:201], v[42:43], v[200:201]              // 000000007CE4: D3B140C8 1803912A
	v_pk_mul_f32 v[202:203], v[42:43], v[202:203]              // 000000007CEC: D3B140CA 1803952A
	v_mul_f32_dpp v200, v12, v200 row_newbcast:12 row_mask:0xf bank_mask:0xf// 000000007CF4: 0B9190FA FF015C0C
	v_mul_f32_dpp v201, v12, v201 row_newbcast:13 row_mask:0xf bank_mask:0xf// 000000007CFC: 0B9392FA FF015D0C
	v_mul_f32_dpp v202, v12, v202 row_newbcast:14 row_mask:0xf bank_mask:0xf// 000000007D04: 0B9594FA FF015E0C
	v_mul_f32_dpp v203, v12, v203 row_newbcast:15 row_mask:0xf bank_mask:0xf// 000000007D0C: 0B9796FA FF015F0C
	v_pk_mul_f32 v[200:201], v[44:45], v[200:201]              // 000000007D14: D3B140C8 1803912C
	v_pk_mul_f32 v[202:203], v[44:45], v[202:203]              // 000000007D1C: D3B140CA 1803952C
	v_mov_b32_e32 v42, v25                                     // 000000007D24: 7E540319
	v_mov_b32_e32 v44, v21                                     // 000000007D28: 7E580315
	v_mov_b32_e32 v43, v42                                     // 000000007D2C: 7E56032A
	v_mov_b32_e32 v45, v44                                     // 000000007D30: 7E5A032C
	v_cvt_f32_i32_e32 v180, v180                               // 000000007D34: 7F680BB4
	v_cvt_f32_i32_e32 v181, v181                               // 000000007D38: 7F6A0BB5
	v_cvt_f32_i32_e32 v182, v182                               // 000000007D3C: 7F6C0BB6
	v_cvt_f32_i32_e32 v183, v183                               // 000000007D40: 7F6E0BB7
	v_pk_mul_f32 v[180:181], v[42:43], v[180:181]              // 000000007D44: D3B140B4 1803692A
	v_pk_mul_f32 v[182:183], v[42:43], v[182:183]              // 000000007D4C: D3B140B6 18036D2A
	v_mul_f32_dpp v180, v12, v180 row_newbcast:0 row_mask:0xf bank_mask:0xf// 000000007D54: 0B6968FA FF01500C
	v_mul_f32_dpp v181, v12, v181 row_newbcast:1 row_mask:0xf bank_mask:0xf// 000000007D5C: 0B6B6AFA FF01510C
	v_mul_f32_dpp v182, v12, v182 row_newbcast:2 row_mask:0xf bank_mask:0xf// 000000007D64: 0B6D6CFA FF01520C
	v_mul_f32_dpp v183, v12, v183 row_newbcast:3 row_mask:0xf bank_mask:0xf// 000000007D6C: 0B6F6EFA FF01530C
	v_pk_mul_f32 v[180:181], v[44:45], v[180:181]              // 000000007D74: D3B140B4 1803692C
	v_pk_mul_f32 v[182:183], v[44:45], v[182:183]              // 000000007D7C: D3B140B6 18036D2C
	v_cvt_f32_i32_e32 v188, v188                               // 000000007D84: 7F780BBC
	v_cvt_f32_i32_e32 v189, v189                               // 000000007D88: 7F7A0BBD
	v_cvt_f32_i32_e32 v190, v190                               // 000000007D8C: 7F7C0BBE
	v_cvt_f32_i32_e32 v191, v191                               // 000000007D90: 7F7E0BBF
	v_pk_mul_f32 v[188:189], v[42:43], v[188:189]              // 000000007D94: D3B140BC 1803792A
	v_pk_mul_f32 v[190:191], v[42:43], v[190:191]              // 000000007D9C: D3B140BE 18037D2A
	v_mul_f32_dpp v188, v12, v188 row_newbcast:4 row_mask:0xf bank_mask:0xf// 000000007DA4: 0B7978FA FF01540C
	v_mul_f32_dpp v189, v12, v189 row_newbcast:5 row_mask:0xf bank_mask:0xf// 000000007DAC: 0B7B7AFA FF01550C
	v_mul_f32_dpp v190, v12, v190 row_newbcast:6 row_mask:0xf bank_mask:0xf// 000000007DB4: 0B7D7CFA FF01560C
	v_mul_f32_dpp v191, v12, v191 row_newbcast:7 row_mask:0xf bank_mask:0xf// 000000007DBC: 0B7F7EFA FF01570C
	v_pk_mul_f32 v[188:189], v[44:45], v[188:189]              // 000000007DC4: D3B140BC 1803792C
	v_pk_mul_f32 v[190:191], v[44:45], v[190:191]              // 000000007DCC: D3B140BE 18037D2C
	v_cvt_f32_i32_e32 v196, v196                               // 000000007DD4: 7F880BC4
	v_cvt_f32_i32_e32 v197, v197                               // 000000007DD8: 7F8A0BC5
	v_cvt_f32_i32_e32 v198, v198                               // 000000007DDC: 7F8C0BC6
	v_cvt_f32_i32_e32 v199, v199                               // 000000007DE0: 7F8E0BC7
	v_pk_mul_f32 v[196:197], v[42:43], v[196:197]              // 000000007DE4: D3B140C4 1803892A
	v_pk_mul_f32 v[198:199], v[42:43], v[198:199]              // 000000007DEC: D3B140C6 18038D2A
	v_mul_f32_dpp v196, v12, v196 row_newbcast:8 row_mask:0xf bank_mask:0xf// 000000007DF4: 0B8988FA FF01580C
	v_mul_f32_dpp v197, v12, v197 row_newbcast:9 row_mask:0xf bank_mask:0xf// 000000007DFC: 0B8B8AFA FF01590C
	v_mul_f32_dpp v198, v12, v198 row_newbcast:10 row_mask:0xf bank_mask:0xf// 000000007E04: 0B8D8CFA FF015A0C
	v_mul_f32_dpp v199, v12, v199 row_newbcast:11 row_mask:0xf bank_mask:0xf// 000000007E0C: 0B8F8EFA FF015B0C
	v_pk_mul_f32 v[196:197], v[44:45], v[196:197]              // 000000007E14: D3B140C4 1803892C
	v_pk_mul_f32 v[198:199], v[44:45], v[198:199]              // 000000007E1C: D3B140C6 18038D2C
	v_cvt_f32_i32_e32 v204, v204                               // 000000007E24: 7F980BCC
	v_cvt_f32_i32_e32 v205, v205                               // 000000007E28: 7F9A0BCD
	v_cvt_f32_i32_e32 v206, v206                               // 000000007E2C: 7F9C0BCE
	v_cvt_f32_i32_e32 v207, v207                               // 000000007E30: 7F9E0BCF
	v_pk_mul_f32 v[204:205], v[42:43], v[204:205]              // 000000007E34: D3B140CC 1803992A
	v_pk_mul_f32 v[206:207], v[42:43], v[206:207]              // 000000007E3C: D3B140CE 18039D2A
	v_mul_f32_dpp v204, v12, v204 row_newbcast:12 row_mask:0xf bank_mask:0xf// 000000007E44: 0B9998FA FF015C0C
	v_mul_f32_dpp v205, v12, v205 row_newbcast:13 row_mask:0xf bank_mask:0xf// 000000007E4C: 0B9B9AFA FF015D0C
	v_mul_f32_dpp v206, v12, v206 row_newbcast:14 row_mask:0xf bank_mask:0xf// 000000007E54: 0B9D9CFA FF015E0C
	v_mul_f32_dpp v207, v12, v207 row_newbcast:15 row_mask:0xf bank_mask:0xf// 000000007E5C: 0B9F9EFA FF015F0C
	v_pk_mul_f32 v[204:205], v[44:45], v[204:205]              // 000000007E64: D3B140CC 1803992C
	v_pk_mul_f32 v[206:207], v[44:45], v[206:207]              // 000000007E6C: D3B140CE 18039D2C
	v_cmp_u_f32_e64 s[48:49], v176, v176                       // 000000007E74: D0480030 000361B0
	v_add3_u32 v50, v176, v53, 1                               // 000000007E7C: D1FF0032 02066BB0
	v_cndmask_b32_e64 v42, v50, v52, s[48:49]                  // 000000007E84: D100002A 00C26932
	v_cmp_u_f32_e64 s[48:49], v177, v177                       // 000000007E8C: D0480030 000363B1
	v_add3_u32 v50, v177, v53, 1                               // 000000007E94: D1FF0032 02066BB1
	v_cndmask_b32_e64 v43, v50, v52, s[48:49]                  // 000000007E9C: D100002B 00C26932
	v_perm_b32 v176, v43, v42, s52                             // 000000007EA4: D1ED00B0 00D2552B
	v_cmp_u_f32_e64 s[48:49], v178, v178                       // 000000007EAC: D0480030 000365B2
	v_add3_u32 v50, v178, v53, 1                               // 000000007EB4: D1FF0032 02066BB2
	v_cndmask_b32_e64 v42, v50, v52, s[48:49]                  // 000000007EBC: D100002A 00C26932
	v_cmp_u_f32_e64 s[48:49], v179, v179                       // 000000007EC4: D0480030 000367B3
	v_add3_u32 v50, v179, v53, 1                               // 000000007ECC: D1FF0032 02066BB3
	v_cndmask_b32_e64 v43, v50, v52, s[48:49]                  // 000000007ED4: D100002B 00C26932
	v_perm_b32 v177, v43, v42, s52                             // 000000007EDC: D1ED00B1 00D2552B
	v_cmp_u_f32_e64 s[48:49], v180, v180                       // 000000007EE4: D0480030 000369B4
	v_add3_u32 v50, v180, v53, 1                               // 000000007EEC: D1FF0032 02066BB4
	v_cndmask_b32_e64 v42, v50, v52, s[48:49]                  // 000000007EF4: D100002A 00C26932
	v_cmp_u_f32_e64 s[48:49], v181, v181                       // 000000007EFC: D0480030 00036BB5
	v_add3_u32 v50, v181, v53, 1                               // 000000007F04: D1FF0032 02066BB5
	v_cndmask_b32_e64 v43, v50, v52, s[48:49]                  // 000000007F0C: D100002B 00C26932
	v_perm_b32 v178, v43, v42, s52                             // 000000007F14: D1ED00B2 00D2552B
	v_cmp_u_f32_e64 s[48:49], v182, v182                       // 000000007F1C: D0480030 00036DB6
	v_add3_u32 v50, v182, v53, 1                               // 000000007F24: D1FF0032 02066BB6
	v_cndmask_b32_e64 v42, v50, v52, s[48:49]                  // 000000007F2C: D100002A 00C26932
	v_cmp_u_f32_e64 s[48:49], v183, v183                       // 000000007F34: D0480030 00036FB7
	v_add3_u32 v50, v183, v53, 1                               // 000000007F3C: D1FF0032 02066BB7
	v_cndmask_b32_e64 v43, v50, v52, s[48:49]                  // 000000007F44: D100002B 00C26932
	v_perm_b32 v179, v43, v42, s52                             // 000000007F4C: D1ED00B3 00D2552B
	v_cmp_u_f32_e64 s[48:49], v184, v184                       // 000000007F54: D0480030 000371B8
	v_add3_u32 v50, v184, v53, 1                               // 000000007F5C: D1FF0032 02066BB8
	v_cndmask_b32_e64 v42, v50, v52, s[48:49]                  // 000000007F64: D100002A 00C26932
	v_cmp_u_f32_e64 s[48:49], v185, v185                       // 000000007F6C: D0480030 000373B9
	v_add3_u32 v50, v185, v53, 1                               // 000000007F74: D1FF0032 02066BB9
	v_cndmask_b32_e64 v43, v50, v52, s[48:49]                  // 000000007F7C: D100002B 00C26932
	v_perm_b32 v180, v43, v42, s52                             // 000000007F84: D1ED00B4 00D2552B
	v_cmp_u_f32_e64 s[48:49], v186, v186                       // 000000007F8C: D0480030 000375BA
	v_add3_u32 v50, v186, v53, 1                               // 000000007F94: D1FF0032 02066BBA
	v_cndmask_b32_e64 v42, v50, v52, s[48:49]                  // 000000007F9C: D100002A 00C26932
	v_cmp_u_f32_e64 s[48:49], v187, v187                       // 000000007FA4: D0480030 000377BB
	v_add3_u32 v50, v187, v53, 1                               // 000000007FAC: D1FF0032 02066BBB
	v_cndmask_b32_e64 v43, v50, v52, s[48:49]                  // 000000007FB4: D100002B 00C26932
	v_perm_b32 v181, v43, v42, s52                             // 000000007FBC: D1ED00B5 00D2552B
	v_cmp_u_f32_e64 s[48:49], v188, v188                       // 000000007FC4: D0480030 000379BC
	v_add3_u32 v50, v188, v53, 1                               // 000000007FCC: D1FF0032 02066BBC
	v_cndmask_b32_e64 v42, v50, v52, s[48:49]                  // 000000007FD4: D100002A 00C26932
	v_cmp_u_f32_e64 s[48:49], v189, v189                       // 000000007FDC: D0480030 00037BBD
	v_add3_u32 v50, v189, v53, 1                               // 000000007FE4: D1FF0032 02066BBD
	v_cndmask_b32_e64 v43, v50, v52, s[48:49]                  // 000000007FEC: D100002B 00C26932
	v_perm_b32 v182, v43, v42, s52                             // 000000007FF4: D1ED00B6 00D2552B
	v_cmp_u_f32_e64 s[48:49], v190, v190                       // 000000007FFC: D0480030 00037DBE
	v_add3_u32 v50, v190, v53, 1                               // 000000008004: D1FF0032 02066BBE
	v_cndmask_b32_e64 v42, v50, v52, s[48:49]                  // 00000000800C: D100002A 00C26932
	v_cmp_u_f32_e64 s[48:49], v191, v191                       // 000000008014: D0480030 00037FBF
	v_add3_u32 v50, v191, v53, 1                               // 00000000801C: D1FF0032 02066BBF
	v_cndmask_b32_e64 v43, v50, v52, s[48:49]                  // 000000008024: D100002B 00C26932
	v_perm_b32 v183, v43, v42, s52                             // 00000000802C: D1ED00B7 00D2552B
	v_cmp_u_f32_e64 s[48:49], v192, v192                       // 000000008034: D0480030 000381C0
	v_add3_u32 v50, v192, v53, 1                               // 00000000803C: D1FF0032 02066BC0
	v_cndmask_b32_e64 v42, v50, v52, s[48:49]                  // 000000008044: D100002A 00C26932
	v_cmp_u_f32_e64 s[48:49], v193, v193                       // 00000000804C: D0480030 000383C1
	v_add3_u32 v50, v193, v53, 1                               // 000000008054: D1FF0032 02066BC1
	v_cndmask_b32_e64 v43, v50, v52, s[48:49]                  // 00000000805C: D100002B 00C26932
	v_perm_b32 v184, v43, v42, s52                             // 000000008064: D1ED00B8 00D2552B
	v_cmp_u_f32_e64 s[48:49], v194, v194                       // 00000000806C: D0480030 000385C2
	v_add3_u32 v50, v194, v53, 1                               // 000000008074: D1FF0032 02066BC2
	v_cndmask_b32_e64 v42, v50, v52, s[48:49]                  // 00000000807C: D100002A 00C26932
	v_cmp_u_f32_e64 s[48:49], v195, v195                       // 000000008084: D0480030 000387C3
	v_add3_u32 v50, v195, v53, 1                               // 00000000808C: D1FF0032 02066BC3
	v_cndmask_b32_e64 v43, v50, v52, s[48:49]                  // 000000008094: D100002B 00C26932
	v_perm_b32 v185, v43, v42, s52                             // 00000000809C: D1ED00B9 00D2552B
	v_cmp_u_f32_e64 s[48:49], v196, v196                       // 0000000080A4: D0480030 000389C4
	v_add3_u32 v50, v196, v53, 1                               // 0000000080AC: D1FF0032 02066BC4
	v_cndmask_b32_e64 v42, v50, v52, s[48:49]                  // 0000000080B4: D100002A 00C26932
	v_cmp_u_f32_e64 s[48:49], v197, v197                       // 0000000080BC: D0480030 00038BC5
	v_add3_u32 v50, v197, v53, 1                               // 0000000080C4: D1FF0032 02066BC5
	v_cndmask_b32_e64 v43, v50, v52, s[48:49]                  // 0000000080CC: D100002B 00C26932
	v_perm_b32 v186, v43, v42, s52                             // 0000000080D4: D1ED00BA 00D2552B
	v_cmp_u_f32_e64 s[48:49], v198, v198                       // 0000000080DC: D0480030 00038DC6
	v_add3_u32 v50, v198, v53, 1                               // 0000000080E4: D1FF0032 02066BC6
	v_cndmask_b32_e64 v42, v50, v52, s[48:49]                  // 0000000080EC: D100002A 00C26932
	v_cmp_u_f32_e64 s[48:49], v199, v199                       // 0000000080F4: D0480030 00038FC7
	v_add3_u32 v50, v199, v53, 1                               // 0000000080FC: D1FF0032 02066BC7
	v_cndmask_b32_e64 v43, v50, v52, s[48:49]                  // 000000008104: D100002B 00C26932
	v_perm_b32 v187, v43, v42, s52                             // 00000000810C: D1ED00BB 00D2552B
	v_cmp_u_f32_e64 s[48:49], v200, v200                       // 000000008114: D0480030 000391C8
	v_add3_u32 v50, v200, v53, 1                               // 00000000811C: D1FF0032 02066BC8
	v_cndmask_b32_e64 v42, v50, v52, s[48:49]                  // 000000008124: D100002A 00C26932
	v_cmp_u_f32_e64 s[48:49], v201, v201                       // 00000000812C: D0480030 000393C9
	v_add3_u32 v50, v201, v53, 1                               // 000000008134: D1FF0032 02066BC9
	v_cndmask_b32_e64 v43, v50, v52, s[48:49]                  // 00000000813C: D100002B 00C26932
	v_perm_b32 v188, v43, v42, s52                             // 000000008144: D1ED00BC 00D2552B
	v_cmp_u_f32_e64 s[48:49], v202, v202                       // 00000000814C: D0480030 000395CA
	v_add3_u32 v50, v202, v53, 1                               // 000000008154: D1FF0032 02066BCA
	v_cndmask_b32_e64 v42, v50, v52, s[48:49]                  // 00000000815C: D100002A 00C26932
	v_cmp_u_f32_e64 s[48:49], v203, v203                       // 000000008164: D0480030 000397CB
	v_add3_u32 v50, v203, v53, 1                               // 00000000816C: D1FF0032 02066BCB
	v_cndmask_b32_e64 v43, v50, v52, s[48:49]                  // 000000008174: D100002B 00C26932
	v_perm_b32 v189, v43, v42, s52                             // 00000000817C: D1ED00BD 00D2552B
	v_cmp_u_f32_e64 s[48:49], v204, v204                       // 000000008184: D0480030 000399CC
	v_add3_u32 v50, v204, v53, 1                               // 00000000818C: D1FF0032 02066BCC
	v_cndmask_b32_e64 v42, v50, v52, s[48:49]                  // 000000008194: D100002A 00C26932
	v_cmp_u_f32_e64 s[48:49], v205, v205                       // 00000000819C: D0480030 00039BCD
	v_add3_u32 v50, v205, v53, 1                               // 0000000081A4: D1FF0032 02066BCD
	v_cndmask_b32_e64 v43, v50, v52, s[48:49]                  // 0000000081AC: D100002B 00C26932
	v_perm_b32 v190, v43, v42, s52                             // 0000000081B4: D1ED00BE 00D2552B
	v_cmp_u_f32_e64 s[48:49], v206, v206                       // 0000000081BC: D0480030 00039DCE
	v_add3_u32 v50, v206, v53, 1                               // 0000000081C4: D1FF0032 02066BCE
	v_cndmask_b32_e64 v42, v50, v52, s[48:49]                  // 0000000081CC: D100002A 00C26932
	v_cmp_u_f32_e64 s[48:49], v207, v207                       // 0000000081D4: D0480030 00039FCF
	v_add3_u32 v50, v207, v53, 1                               // 0000000081DC: D1FF0032 02066BCF
	v_cndmask_b32_e64 v43, v50, v52, s[48:49]                  // 0000000081E4: D100002B 00C26932
	v_perm_b32 v191, v43, v42, s52                             // 0000000081EC: D1ED00BF 00D2552B
	s_cmp_ge_u32 s80, 0x200                                    // 0000000081F4: BF09FF50 00000200
	s_cselect_b32 s59, 0x200, s59                              // 0000000081FC: 853B3BFF 00000200
	s_setvskip s20, 0                                          // 000000008204: BF108014
	global_atomic_pk_add_bf16 v80, v64, s[8:9]                 // 000000008208: DD488000 00084050
	s_setvskip 0, 0                                            // 000000008210: BF108080
	s_setvskip s20, 0                                          // 000000008214: BF108014
	global_atomic_pk_add_bf16 v80, v65, s[8:9] offset:256      // 000000008218: DD488100 00084150
	s_setvskip 0, 0                                            // 000000008220: BF108080
	s_setvskip s20, 1                                          // 000000008224: BF108114
	global_atomic_pk_add_bf16 v82, v66, s[8:9]                 // 000000008228: DD488000 00084252
	s_setvskip 0, 0                                            // 000000008230: BF108080
	s_setvskip s20, 1                                          // 000000008234: BF108114
	global_atomic_pk_add_bf16 v82, v67, s[8:9] offset:256      // 000000008238: DD488100 00084352
	s_setvskip 0, 0                                            // 000000008240: BF108080
	s_setvskip s20, 2                                          // 000000008244: BF108214
	global_atomic_pk_add_bf16 v84, v68, s[8:9]                 // 000000008248: DD488000 00084454
	s_setvskip 0, 0                                            // 000000008250: BF108080
	s_setvskip s20, 2                                          // 000000008254: BF108214
	global_atomic_pk_add_bf16 v84, v69, s[8:9] offset:256      // 000000008258: DD488100 00084554
	s_setvskip 0, 0                                            // 000000008260: BF108080
	s_setvskip s20, 3                                          // 000000008264: BF108314
	global_atomic_pk_add_bf16 v86, v70, s[8:9]                 // 000000008268: DD488000 00084656
	s_setvskip 0, 0                                            // 000000008270: BF108080
	s_setvskip s20, 3                                          // 000000008274: BF108314
	global_atomic_pk_add_bf16 v86, v71, s[8:9] offset:256      // 000000008278: DD488100 00084756
	s_setvskip 0, 0                                            // 000000008280: BF108080
	s_setvskip s20, 4                                          // 000000008284: BF108414
	global_atomic_pk_add_bf16 v88, v72, s[8:9]                 // 000000008288: DD488000 00084858
	s_setvskip 0, 0                                            // 000000008290: BF108080
	s_setvskip s20, 4                                          // 000000008294: BF108414
	global_atomic_pk_add_bf16 v88, v73, s[8:9] offset:256      // 000000008298: DD488100 00084958
	s_setvskip 0, 0                                            // 0000000082A0: BF108080
	s_setvskip s20, 5                                          // 0000000082A4: BF108514
	global_atomic_pk_add_bf16 v90, v74, s[8:9]                 // 0000000082A8: DD488000 00084A5A
	s_setvskip 0, 0                                            // 0000000082B0: BF108080
	s_setvskip s20, 5                                          // 0000000082B4: BF108514
	global_atomic_pk_add_bf16 v90, v75, s[8:9] offset:256      // 0000000082B8: DD488100 00084B5A
	s_setvskip 0, 0                                            // 0000000082C0: BF108080
	s_setvskip s20, 6                                          // 0000000082C4: BF108614
	global_atomic_pk_add_bf16 v92, v76, s[8:9]                 // 0000000082C8: DD488000 00084C5C
	s_setvskip 0, 0                                            // 0000000082D0: BF108080
	s_setvskip s20, 6                                          // 0000000082D4: BF108614
	global_atomic_pk_add_bf16 v92, v77, s[8:9] offset:256      // 0000000082D8: DD488100 00084D5C
	s_setvskip 0, 0                                            // 0000000082E0: BF108080
	s_setvskip s20, 7                                          // 0000000082E4: BF108714
	global_atomic_pk_add_bf16 v94, v78, s[8:9]                 // 0000000082E8: DD488000 00084E5E
	s_setvskip 0, 0                                            // 0000000082F0: BF108080
	s_setvskip s20, 7                                          // 0000000082F4: BF108714
	global_atomic_pk_add_bf16 v94, v79, s[8:9] offset:256      // 0000000082F8: DD488100 00084F5E
	s_setvskip 0, 0                                            // 000000008300: BF108080
	s_add_u32 s8, s59, s8                                      // 000000008304: 8008083B
	s_addc_u32 s9, 0, s9                                       // 000000008308: 82090980
	s_addk_i32 s80, 0x100                                      // 00000000830C: B7500100
	s_cmp_lt_i32 s80, s81                                      // 000000008310: BF045150
	s_cbranch_scc0 label_1855                                  // 000000008314: BF84030F
	s_waitcnt vmcnt(21) lgkmcnt(0)                             // 000000008318: BF8C4075
	s_barrier                                                  // 00000000831C: BF8A0000
	v_mfma_i32_16x16x32_i8 v[208:211], a[96:97], v[128:129], 0 // 000000008320: D3D700D0 0A030160
	ds_read_b32 v64, v4 offset:19456                           // 000000008328: D86C4C00 40000004
	ds_read_b32 v65, v4 offset:23808                           // 000000008330: D86C5D00 41000004
	v_mfma_i32_16x16x32_i8 v[208:211], a[98:99], v[130:131], v[208:211]// 000000008338: D3D700D0 0F430562
	buffer_load_dwordx4 a[0:3], v46, s[12:15], 0 offen         // 000000008340: E05C1000 8083002E
	v_mfma_i32_16x16x32_i8 v[212:215], a[96:97], v[152:153], 0 // 000000008348: D3D700D4 0A033160
	ds_read_b32 v66, v4 offset:19488                           // 000000008350: D86C4C20 42000004
	ds_read_b32 v67, v4 offset:23840                           // 000000008358: D86C5D20 43000004
	v_mfma_i32_16x16x32_i8 v[212:215], a[98:99], v[154:155], v[212:215]// 000000008360: D3D700D4 0F533562
	v_mfma_i32_16x16x32_i8 v[216:219], a[100:101], v[128:129], 0// 000000008368: D3D700D8 0A030164
	ds_read_b32 v68, v4 offset:19520                           // 000000008370: D86C4C40 44000004
	ds_read_b32 v69, v4 offset:23872                           // 000000008378: D86C5D40 45000004
	v_mfma_i32_16x16x32_i8 v[216:219], a[102:103], v[130:131], v[216:219]// 000000008380: D3D700D8 0F630566
	buffer_load_dwordx4 a[4:7], v47, s[12:15], 0 offen         // 000000008388: E05C1000 8083042F
	v_mfma_i32_16x16x32_i8 v[220:223], a[100:101], v[152:153], 0// 000000008390: D3D700DC 0A033164
	ds_read_b32 v70, v4 offset:19552                           // 000000008398: D86C4C60 46000004
	ds_read_b32 v71, v4 offset:23904                           // 0000000083A0: D86C5D60 47000004
	v_mfma_i32_16x16x32_i8 v[220:223], a[102:103], v[154:155], v[220:223]// 0000000083A8: D3D700DC 0F733566
	v_mfma_i32_16x16x32_i8 v[224:227], a[104:105], v[128:129], 0// 0000000083B0: D3D700E0 0A030168
	ds_read_b32 v72, v4 offset:28160                           // 0000000083B8: D86C6E00 48000004
	ds_read_b32 v73, v4 offset:32512                           // 0000000083C0: D86C7F00 49000004
	v_mfma_i32_16x16x32_i8 v[224:227], a[106:107], v[130:131], v[224:227]// 0000000083C8: D3D700E0 0F83056A
	buffer_load_dwordx4 a[8:11], v48, s[12:15], 0 offen        // 0000000083D0: E05C1000 80830830
	v_mfma_i32_16x16x32_i8 v[228:231], a[104:105], v[152:153], 0// 0000000083D8: D3D700E4 0A033168
	ds_read_b32 v74, v4 offset:28192                           // 0000000083E0: D86C6E20 4A000004
	ds_read_b32 v75, v4 offset:32544                           // 0000000083E8: D86C7F20 4B000004
	v_mfma_i32_16x16x32_i8 v[228:231], a[106:107], v[154:155], v[228:231]// 0000000083F0: D3D700E4 0F93356A
	v_mfma_i32_16x16x32_i8 v[232:235], a[108:109], v[128:129], 0// 0000000083F8: D3D700E8 0A03016C
	ds_read_b32 v76, v4 offset:28224                           // 000000008400: D86C6E40 4C000004
	ds_read_b32 v77, v4 offset:32576                           // 000000008408: D86C7F40 4D000004
	v_mfma_i32_16x16x32_i8 v[232:235], a[110:111], v[130:131], v[232:235]// 000000008410: D3D700E8 0FA3056E
	buffer_load_dwordx4 a[12:15], v49, s[12:15], 0 offen       // 000000008418: E05C1000 80830C31
	s_add_u32 s12, s78, s12                                    // 000000008420: 800C0C4E
	s_addc_u32 s13, 0, s13                                     // 000000008424: 820D0D80
	v_mfma_i32_16x16x32_i8 v[236:239], a[108:109], v[152:153], 0// 000000008428: D3D700EC 0A03316C
	ds_read_b32 v78, v4 offset:28256                           // 000000008430: D86C6E60 4E000004
	ds_read_b32 v79, v4 offset:32608                           // 000000008438: D86C7F60 4F000004
	v_mfma_i32_16x16x32_i8 v[236:239], a[110:111], v[154:155], v[236:239]// 000000008440: D3D700EC 0FB3356E
	s_waitcnt vmcnt(21)                                        // 000000008448: BF8C4F75
	v_mfma_i32_16x16x32_i8 v[208:211], a[112:113], v[132:133], v[208:211]// 00000000844C: D3D700D0 0F430970
	v_mfma_i32_16x16x32_i8 v[208:211], a[114:115], v[134:135], v[208:211]// 000000008454: D3D700D0 0F430D72
	buffer_load_dwordx4 a[16:19], v46, s[12:15], 0 offen       // 00000000845C: E05C1000 8083102E
	v_mfma_i32_16x16x32_i8 v[212:215], a[112:113], v[156:157], v[212:215]// 000000008464: D3D700D4 0F533970
	v_mfma_i32_16x16x32_i8 v[212:215], a[114:115], v[158:159], v[212:215]// 00000000846C: D3D700D4 0F533D72
	v_mfma_i32_16x16x32_i8 v[216:219], a[116:117], v[132:133], v[216:219]// 000000008474: D3D700D8 0F630974
	v_mfma_i32_16x16x32_i8 v[216:219], a[118:119], v[134:135], v[216:219]// 00000000847C: D3D700D8 0F630D76
	buffer_load_dwordx4 a[20:23], v47, s[12:15], 0 offen       // 000000008484: E05C1000 8083142F
	v_mfma_i32_16x16x32_i8 v[220:223], a[116:117], v[156:157], v[220:223]// 00000000848C: D3D700DC 0F733974
	v_mfma_i32_16x16x32_i8 v[220:223], a[118:119], v[158:159], v[220:223]// 000000008494: D3D700DC 0F733D76
	v_mfma_i32_16x16x32_i8 v[224:227], a[120:121], v[132:133], v[224:227]// 00000000849C: D3D700E0 0F830978
	v_mfma_i32_16x16x32_i8 v[224:227], a[122:123], v[134:135], v[224:227]// 0000000084A4: D3D700E0 0F830D7A
	buffer_load_dwordx4 a[24:27], v48, s[12:15], 0 offen       // 0000000084AC: E05C1000 80831830
	v_mfma_i32_16x16x32_i8 v[228:231], a[120:121], v[156:157], v[228:231]// 0000000084B4: D3D700E4 0F933978
	v_mfma_i32_16x16x32_i8 v[228:231], a[122:123], v[158:159], v[228:231]// 0000000084BC: D3D700E4 0F933D7A
	v_mfma_i32_16x16x32_i8 v[232:235], a[124:125], v[132:133], v[232:235]// 0000000084C4: D3D700E8 0FA3097C
	v_mfma_i32_16x16x32_i8 v[232:235], a[126:127], v[134:135], v[232:235]// 0000000084CC: D3D700E8 0FA30D7E
	buffer_load_dwordx4 a[28:31], v49, s[12:15], 0 offen       // 0000000084D4: E05C1000 80831C31
	s_add_u32 s12, s78, s12                                    // 0000000084DC: 800C0C4E
	s_addc_u32 s13, 0, s13                                     // 0000000084E0: 820D0D80
	v_mfma_i32_16x16x32_i8 v[236:239], a[124:125], v[156:157], v[236:239]// 0000000084E4: D3D700EC 0FB3397C
	v_mfma_i32_16x16x32_i8 v[236:239], a[126:127], v[158:159], v[236:239]// 0000000084EC: D3D700EC 0FB33D7E
	s_waitcnt vmcnt(21)                                        // 0000000084F4: BF8C4F75
	v_mfma_i32_16x16x32_i8 v[208:211], a[128:129], v[136:137], v[208:211]// 0000000084F8: D3D700D0 0F431180
	ds_write_b64 v3, v[176:177] offset:2048                    // 000000008500: D89A0800 0000B003
	v_mfma_i32_16x16x32_i8 v[208:211], a[130:131], v[138:139], v[208:211]// 000000008508: D3D700D0 0F431582
	buffer_load_dwordx4 a[32:35], v46, s[12:15], 0 offen       // 000000008510: E05C1000 8083202E
	v_mfma_i32_16x16x32_i8 v[212:215], a[128:129], v[160:161], v[212:215]// 000000008518: D3D700D4 0F534180
	ds_write_b64 v3, v[178:179] offset:10752                   // 000000008520: D89A2A00 0000B203
	v_mfma_i32_16x16x32_i8 v[212:215], a[130:131], v[162:163], v[212:215]// 000000008528: D3D700D4 0F534582
	v_mfma_i32_16x16x32_i8 v[216:219], a[132:133], v[136:137], v[216:219]// 000000008530: D3D700D8 0F631184
	ds_write_b64 v3, v[180:181] offset:4224                    // 000000008538: D89A1080 0000B403
	v_mfma_i32_16x16x32_i8 v[216:219], a[134:135], v[138:139], v[216:219]// 000000008540: D3D700D8 0F631586
	buffer_load_dwordx4 a[36:39], v47, s[12:15], 0 offen       // 000000008548: E05C1000 8083242F
	v_mfma_i32_16x16x32_i8 v[220:223], a[132:133], v[160:161], v[220:223]// 000000008550: D3D700DC 0F734184
	ds_write_b64 v3, v[182:183] offset:12928                   // 000000008558: D89A3280 0000B603
	v_mfma_i32_16x16x32_i8 v[220:223], a[134:135], v[162:163], v[220:223]// 000000008560: D3D700DC 0F734586
	v_mfma_i32_16x16x32_i8 v[224:227], a[136:137], v[136:137], v[224:227]// 000000008568: D3D700E0 0F831188
	ds_write_b64 v3, v[184:185] offset:6400                    // 000000008570: D89A1900 0000B803
	v_mfma_i32_16x16x32_i8 v[224:227], a[138:139], v[138:139], v[224:227]// 000000008578: D3D700E0 0F83158A
	buffer_load_dwordx4 a[40:43], v48, s[12:15], 0 offen       // 000000008580: E05C1000 80832830
	v_mfma_i32_16x16x32_i8 v[228:231], a[136:137], v[160:161], v[228:231]// 000000008588: D3D700E4 0F934188
	ds_write_b64 v3, v[186:187] offset:15104                   // 000000008590: D89A3B00 0000BA03
	v_mfma_i32_16x16x32_i8 v[228:231], a[138:139], v[162:163], v[228:231]// 000000008598: D3D700E4 0F93458A
	v_mfma_i32_16x16x32_i8 v[232:235], a[140:141], v[136:137], v[232:235]// 0000000085A0: D3D700E8 0FA3118C
	ds_write_b64 v3, v[188:189] offset:8576                    // 0000000085A8: D89A2180 0000BC03
	v_mfma_i32_16x16x32_i8 v[232:235], a[142:143], v[138:139], v[232:235]// 0000000085B0: D3D700E8 0FA3158E
	buffer_load_dwordx4 a[44:47], v49, s[12:15], 0 offen       // 0000000085B8: E05C1000 80832C31
	s_add_u32 s12, s78, s12                                    // 0000000085C0: 800C0C4E
	s_addc_u32 s13, 0, s13                                     // 0000000085C4: 820D0D80
	v_mfma_i32_16x16x32_i8 v[236:239], a[140:141], v[160:161], v[236:239]// 0000000085C8: D3D700EC 0FB3418C
	ds_write_b64 v3, v[190:191] offset:17280                   // 0000000085D0: D89A4380 0000BE03
	v_mfma_i32_16x16x32_i8 v[236:239], a[142:143], v[162:163], v[236:239]// 0000000085D8: D3D700EC 0FB3458E
	s_waitcnt vmcnt(21)                                        // 0000000085E0: BF8C4F75
	v_mfma_i32_16x16x32_i8 v[208:211], a[144:145], v[140:141], v[208:211]// 0000000085E4: D3D700D0 0F431990
	v_mfma_i32_16x16x32_i8 v[208:211], a[146:147], v[142:143], v[208:211]// 0000000085EC: D3D700D0 0F431D92
	buffer_load_dwordx4 a[48:51], v46, s[12:15], 0 offen       // 0000000085F4: E05C1000 8083302E
	v_mfma_i32_16x16x32_i8 v[212:215], a[144:145], v[164:165], v[212:215]// 0000000085FC: D3D700D4 0F534990
	v_mfma_i32_16x16x32_i8 v[212:215], a[146:147], v[166:167], v[212:215]// 000000008604: D3D700D4 0F534D92
	v_mfma_i32_16x16x32_i8 v[216:219], a[148:149], v[140:141], v[216:219]// 00000000860C: D3D700D8 0F631994
	v_mfma_i32_16x16x32_i8 v[216:219], a[150:151], v[142:143], v[216:219]// 000000008614: D3D700D8 0F631D96
	buffer_load_dwordx4 a[52:55], v47, s[12:15], 0 offen       // 00000000861C: E05C1000 8083342F
	v_mfma_i32_16x16x32_i8 v[220:223], a[148:149], v[164:165], v[220:223]// 000000008624: D3D700DC 0F734994
	v_mfma_i32_16x16x32_i8 v[220:223], a[150:151], v[166:167], v[220:223]// 00000000862C: D3D700DC 0F734D96
	v_mfma_i32_16x16x32_i8 v[224:227], a[152:153], v[140:141], v[224:227]// 000000008634: D3D700E0 0F831998
	v_mfma_i32_16x16x32_i8 v[224:227], a[154:155], v[142:143], v[224:227]// 00000000863C: D3D700E0 0F831D9A
	buffer_load_dwordx4 a[56:59], v48, s[12:15], 0 offen       // 000000008644: E05C1000 80833830
	v_mfma_i32_16x16x32_i8 v[228:231], a[152:153], v[164:165], v[228:231]// 00000000864C: D3D700E4 0F934998
	v_mfma_i32_16x16x32_i8 v[228:231], a[154:155], v[166:167], v[228:231]// 000000008654: D3D700E4 0F934D9A
	v_mfma_i32_16x16x32_i8 v[232:235], a[156:157], v[140:141], v[232:235]// 00000000865C: D3D700E8 0FA3199C
	v_mfma_i32_16x16x32_i8 v[232:235], a[158:159], v[142:143], v[232:235]// 000000008664: D3D700E8 0FA31D9E
	buffer_load_dwordx4 a[60:63], v49, s[12:15], 0 offen       // 00000000866C: E05C1000 80833C31
	s_add_u32 s12, s78, s12                                    // 000000008674: 800C0C4E
	s_addc_u32 s13, 0, s13                                     // 000000008678: 820D0D80
	v_mfma_i32_16x16x32_i8 v[236:239], a[156:157], v[164:165], v[236:239]// 00000000867C: D3D700EC 0FB3499C
	v_mfma_i32_16x16x32_i8 v[236:239], a[158:159], v[166:167], v[236:239]// 000000008684: D3D700EC 0FB34D9E
	s_waitcnt vmcnt(21)                                        // 00000000868C: BF8C4F75
	v_mfma_i32_16x16x32_i8 v[208:211], a[160:161], v[144:145], v[208:211]// 000000008690: D3D700D0 0F4321A0
	v_mfma_i32_16x16x32_i8 v[208:211], a[162:163], v[146:147], v[208:211]// 000000008698: D3D700D0 0F4325A2
	buffer_load_dwordx4 a[64:67], v46, s[12:15], 0 offen       // 0000000086A0: E05C1000 8083402E
	v_mfma_i32_16x16x32_i8 v[212:215], a[160:161], v[168:169], v[212:215]// 0000000086A8: D3D700D4 0F5351A0
	v_mfma_i32_16x16x32_i8 v[212:215], a[162:163], v[170:171], v[212:215]// 0000000086B0: D3D700D4 0F5355A2
	v_mfma_i32_16x16x32_i8 v[216:219], a[164:165], v[144:145], v[216:219]// 0000000086B8: D3D700D8 0F6321A4
	v_mfma_i32_16x16x32_i8 v[216:219], a[166:167], v[146:147], v[216:219]// 0000000086C0: D3D700D8 0F6325A6
	buffer_load_dwordx4 a[68:71], v47, s[12:15], 0 offen       // 0000000086C8: E05C1000 8083442F
	v_mfma_i32_16x16x32_i8 v[220:223], a[164:165], v[168:169], v[220:223]// 0000000086D0: D3D700DC 0F7351A4
	v_mfma_i32_16x16x32_i8 v[220:223], a[166:167], v[170:171], v[220:223]// 0000000086D8: D3D700DC 0F7355A6
	v_mfma_i32_16x16x32_i8 v[224:227], a[168:169], v[144:145], v[224:227]// 0000000086E0: D3D700E0 0F8321A8
	v_mfma_i32_16x16x32_i8 v[224:227], a[170:171], v[146:147], v[224:227]// 0000000086E8: D3D700E0 0F8325AA
	buffer_load_dwordx4 a[72:75], v48, s[12:15], 0 offen       // 0000000086F0: E05C1000 80834830
	v_mfma_i32_16x16x32_i8 v[228:231], a[168:169], v[168:169], v[228:231]// 0000000086F8: D3D700E4 0F9351A8
	v_mfma_i32_16x16x32_i8 v[228:231], a[170:171], v[170:171], v[228:231]// 000000008700: D3D700E4 0F9355AA
	v_mfma_i32_16x16x32_i8 v[232:235], a[172:173], v[144:145], v[232:235]// 000000008708: D3D700E8 0FA321AC
	v_mfma_i32_16x16x32_i8 v[232:235], a[174:175], v[146:147], v[232:235]// 000000008710: D3D700E8 0FA325AE
	buffer_load_dwordx4 a[76:79], v49, s[12:15], 0 offen       // 000000008718: E05C1000 80834C31
	s_add_u32 s12, s78, s12                                    // 000000008720: 800C0C4E
	s_addc_u32 s13, 0, s13                                     // 000000008724: 820D0D80
	v_mfma_i32_16x16x32_i8 v[236:239], a[172:173], v[168:169], v[236:239]// 000000008728: D3D700EC 0FB351AC
	v_mfma_i32_16x16x32_i8 v[236:239], a[174:175], v[170:171], v[236:239]// 000000008730: D3D700EC 0FB355AE
	s_waitcnt vmcnt(20)                                        // 000000008738: BF8C4F74
	v_mfma_i32_16x16x32_i8 v[208:211], a[176:177], v[148:149], v[208:211]// 00000000873C: D3D700D0 0F4329B0
	v_mfma_i32_16x16x32_i8 v[208:211], a[178:179], v[150:151], v[208:211]// 000000008744: D3D700D0 0F432DB2
	buffer_load_dwordx4 a[80:83], v46, s[12:15], 0 offen       // 00000000874C: E05C1000 8083502E
	v_mfma_i32_16x16x32_i8 v[212:215], a[176:177], v[172:173], v[212:215]// 000000008754: D3D700D4 0F5359B0
	v_mfma_i32_16x16x32_i8 v[212:215], a[178:179], v[174:175], v[212:215]// 00000000875C: D3D700D4 0F535DB2
	buffer_load_dword v12, v5, s[16:19], 0 offen               // 000000008764: E0501000 80040C05
	v_mfma_i32_16x16x32_i8 v[216:219], a[180:181], v[148:149], v[216:219]// 00000000876C: D3D700D8 0F6329B4
	v_mfma_i32_16x16x32_i8 v[216:219], a[182:183], v[150:151], v[216:219]// 000000008774: D3D700D8 0F632DB6
	buffer_load_dwordx4 a[84:87], v47, s[12:15], 0 offen       // 00000000877C: E05C1000 8083542F
	v_mfma_i32_16x16x32_i8 v[220:223], a[180:181], v[172:173], v[220:223]// 000000008784: D3D700DC 0F7359B4
	v_mfma_i32_16x16x32_i8 v[220:223], a[182:183], v[174:175], v[220:223]// 00000000878C: D3D700DC 0F735DB6
	v_mfma_i32_16x16x32_i8 v[224:227], a[184:185], v[148:149], v[224:227]// 000000008794: D3D700E0 0F8329B8
	v_mfma_i32_16x16x32_i8 v[224:227], a[186:187], v[150:151], v[224:227]// 00000000879C: D3D700E0 0F832DBA
	buffer_load_dwordx4 a[88:91], v48, s[12:15], 0 offen       // 0000000087A4: E05C1000 80835830
	v_mfma_i32_16x16x32_i8 v[228:231], a[184:185], v[172:173], v[228:231]// 0000000087AC: D3D700E4 0F9359B8
	v_mfma_i32_16x16x32_i8 v[228:231], a[186:187], v[174:175], v[228:231]// 0000000087B4: D3D700E4 0F935DBA
	v_mfma_i32_16x16x32_i8 v[232:235], a[188:189], v[148:149], v[232:235]// 0000000087BC: D3D700E8 0FA329BC
	v_mfma_i32_16x16x32_i8 v[232:235], a[190:191], v[150:151], v[232:235]// 0000000087C4: D3D700E8 0FA32DBE
	buffer_load_dwordx4 a[92:95], v49, s[12:15], 0 offen       // 0000000087CC: E05C1000 80835C31
	v_mfma_i32_16x16x32_i8 v[236:239], a[188:189], v[172:173], v[236:239]// 0000000087D4: D3D700EC 0FB359BC
	v_mfma_i32_16x16x32_i8 v[236:239], a[190:191], v[174:175], v[236:239]// 0000000087DC: D3D700EC 0FB35DBE
	s_add_u32 s60, 0x200, s80                                  // 0000000087E4: 803C50FF 00000200
	s_cmp_lt_u32 s60, s81                                      // 0000000087EC: BF0A513C
	s_cselect_b32 s56, s56, 0                                  // 0000000087F0: 85388038
	s_cselect_b32 s78, s78, 0                                  // 0000000087F4: 854E804E
	s_cselect_b32 s79, s79, 0                                  // 0000000087F8: 854F804F
	s_add_u32 s12, s56, s12                                    // 0000000087FC: 800C0C38
	s_addc_u32 s13, 0, s13                                     // 000000008800: 820D0D80
	s_add_u32 s16, s79, s16                                    // 000000008804: 8010104F
	s_addc_u32 s17, 0, s17                                     // 000000008808: 82111180
	v_mov_b32_e32 v42, v24                                     // 00000000880C: 7E540318
	v_mov_b32_e32 v44, v20                                     // 000000008810: 7E580314
	v_mov_b32_e32 v43, v42                                     // 000000008814: 7E56032A
	v_mov_b32_e32 v45, v44                                     // 000000008818: 7E5A032C
	v_cvt_f32_i32_e32 v208, v208                               // 00000000881C: 7FA00BD0
	v_cvt_f32_i32_e32 v209, v209                               // 000000008820: 7FA20BD1
	v_cvt_f32_i32_e32 v210, v210                               // 000000008824: 7FA40BD2
	v_cvt_f32_i32_e32 v211, v211                               // 000000008828: 7FA60BD3
	v_pk_mul_f32 v[208:209], v[42:43], v[208:209]              // 00000000882C: D3B140D0 1803A12A
	v_pk_mul_f32 v[210:211], v[42:43], v[210:211]              // 000000008834: D3B140D2 1803A52A
	v_mul_f32_dpp v208, v13, v208 row_newbcast:0 row_mask:0xf bank_mask:0xf// 00000000883C: 0BA1A0FA FF01500D
	v_mul_f32_dpp v209, v13, v209 row_newbcast:1 row_mask:0xf bank_mask:0xf// 000000008844: 0BA3A2FA FF01510D
	v_mul_f32_dpp v210, v13, v210 row_newbcast:2 row_mask:0xf bank_mask:0xf// 00000000884C: 0BA5A4FA FF01520D
	v_mul_f32_dpp v211, v13, v211 row_newbcast:3 row_mask:0xf bank_mask:0xf// 000000008854: 0BA7A6FA FF01530D
	v_pk_mul_f32 v[208:209], v[44:45], v[208:209]              // 00000000885C: D3B140D0 1803A12C
	v_pk_mul_f32 v[210:211], v[44:45], v[210:211]              // 000000008864: D3B140D2 1803A52C
	v_cvt_f32_i32_e32 v216, v216                               // 00000000886C: 7FB00BD8
	v_cvt_f32_i32_e32 v217, v217                               // 000000008870: 7FB20BD9
	v_cvt_f32_i32_e32 v218, v218                               // 000000008874: 7FB40BDA
	v_cvt_f32_i32_e32 v219, v219                               // 000000008878: 7FB60BDB
	v_pk_mul_f32 v[216:217], v[42:43], v[216:217]              // 00000000887C: D3B140D8 1803B12A
	v_pk_mul_f32 v[218:219], v[42:43], v[218:219]              // 000000008884: D3B140DA 1803B52A
	v_mul_f32_dpp v216, v13, v216 row_newbcast:4 row_mask:0xf bank_mask:0xf// 00000000888C: 0BB1B0FA FF01540D
	v_mul_f32_dpp v217, v13, v217 row_newbcast:5 row_mask:0xf bank_mask:0xf// 000000008894: 0BB3B2FA FF01550D
	v_mul_f32_dpp v218, v13, v218 row_newbcast:6 row_mask:0xf bank_mask:0xf// 00000000889C: 0BB5B4FA FF01560D
	v_mul_f32_dpp v219, v13, v219 row_newbcast:7 row_mask:0xf bank_mask:0xf// 0000000088A4: 0BB7B6FA FF01570D
	v_pk_mul_f32 v[216:217], v[44:45], v[216:217]              // 0000000088AC: D3B140D8 1803B12C
	v_pk_mul_f32 v[218:219], v[44:45], v[218:219]              // 0000000088B4: D3B140DA 1803B52C
	v_cvt_f32_i32_e32 v224, v224                               // 0000000088BC: 7FC00BE0
	v_cvt_f32_i32_e32 v225, v225                               // 0000000088C0: 7FC20BE1
	v_cvt_f32_i32_e32 v226, v226                               // 0000000088C4: 7FC40BE2
	v_cvt_f32_i32_e32 v227, v227                               // 0000000088C8: 7FC60BE3
	v_pk_mul_f32 v[224:225], v[42:43], v[224:225]              // 0000000088CC: D3B140E0 1803C12A
	v_pk_mul_f32 v[226:227], v[42:43], v[226:227]              // 0000000088D4: D3B140E2 1803C52A
	v_mul_f32_dpp v224, v13, v224 row_newbcast:8 row_mask:0xf bank_mask:0xf// 0000000088DC: 0BC1C0FA FF01580D
	v_mul_f32_dpp v225, v13, v225 row_newbcast:9 row_mask:0xf bank_mask:0xf// 0000000088E4: 0BC3C2FA FF01590D
	v_mul_f32_dpp v226, v13, v226 row_newbcast:10 row_mask:0xf bank_mask:0xf// 0000000088EC: 0BC5C4FA FF015A0D
	v_mul_f32_dpp v227, v13, v227 row_newbcast:11 row_mask:0xf bank_mask:0xf// 0000000088F4: 0BC7C6FA FF015B0D
	v_pk_mul_f32 v[224:225], v[44:45], v[224:225]              // 0000000088FC: D3B140E0 1803C12C
	v_pk_mul_f32 v[226:227], v[44:45], v[226:227]              // 000000008904: D3B140E2 1803C52C
	v_cvt_f32_i32_e32 v232, v232                               // 00000000890C: 7FD00BE8
	v_cvt_f32_i32_e32 v233, v233                               // 000000008910: 7FD20BE9
	v_cvt_f32_i32_e32 v234, v234                               // 000000008914: 7FD40BEA
	v_cvt_f32_i32_e32 v235, v235                               // 000000008918: 7FD60BEB
	v_pk_mul_f32 v[232:233], v[42:43], v[232:233]              // 00000000891C: D3B140E8 1803D12A
	v_pk_mul_f32 v[234:235], v[42:43], v[234:235]              // 000000008924: D3B140EA 1803D52A
	v_mul_f32_dpp v232, v13, v232 row_newbcast:12 row_mask:0xf bank_mask:0xf// 00000000892C: 0BD1D0FA FF015C0D
	v_mul_f32_dpp v233, v13, v233 row_newbcast:13 row_mask:0xf bank_mask:0xf// 000000008934: 0BD3D2FA FF015D0D
	v_mul_f32_dpp v234, v13, v234 row_newbcast:14 row_mask:0xf bank_mask:0xf// 00000000893C: 0BD5D4FA FF015E0D
	v_mul_f32_dpp v235, v13, v235 row_newbcast:15 row_mask:0xf bank_mask:0xf// 000000008944: 0BD7D6FA FF015F0D
	v_pk_mul_f32 v[232:233], v[44:45], v[232:233]              // 00000000894C: D3B140E8 1803D12C
	v_pk_mul_f32 v[234:235], v[44:45], v[234:235]              // 000000008954: D3B140EA 1803D52C
	v_mov_b32_e32 v42, v25                                     // 00000000895C: 7E540319
	v_mov_b32_e32 v44, v21                                     // 000000008960: 7E580315
	v_mov_b32_e32 v43, v42                                     // 000000008964: 7E56032A
	v_mov_b32_e32 v45, v44                                     // 000000008968: 7E5A032C
	v_cvt_f32_i32_e32 v212, v212                               // 00000000896C: 7FA80BD4
	v_cvt_f32_i32_e32 v213, v213                               // 000000008970: 7FAA0BD5
	v_cvt_f32_i32_e32 v214, v214                               // 000000008974: 7FAC0BD6
	v_cvt_f32_i32_e32 v215, v215                               // 000000008978: 7FAE0BD7
	v_pk_mul_f32 v[212:213], v[42:43], v[212:213]              // 00000000897C: D3B140D4 1803A92A
	v_pk_mul_f32 v[214:215], v[42:43], v[214:215]              // 000000008984: D3B140D6 1803AD2A
	v_mul_f32_dpp v212, v13, v212 row_newbcast:0 row_mask:0xf bank_mask:0xf// 00000000898C: 0BA9A8FA FF01500D
	v_mul_f32_dpp v213, v13, v213 row_newbcast:1 row_mask:0xf bank_mask:0xf// 000000008994: 0BABAAFA FF01510D
	v_mul_f32_dpp v214, v13, v214 row_newbcast:2 row_mask:0xf bank_mask:0xf// 00000000899C: 0BADACFA FF01520D
	v_mul_f32_dpp v215, v13, v215 row_newbcast:3 row_mask:0xf bank_mask:0xf// 0000000089A4: 0BAFAEFA FF01530D
	v_pk_mul_f32 v[212:213], v[44:45], v[212:213]              // 0000000089AC: D3B140D4 1803A92C
	v_pk_mul_f32 v[214:215], v[44:45], v[214:215]              // 0000000089B4: D3B140D6 1803AD2C
	v_cvt_f32_i32_e32 v220, v220                               // 0000000089BC: 7FB80BDC
	v_cvt_f32_i32_e32 v221, v221                               // 0000000089C0: 7FBA0BDD
	v_cvt_f32_i32_e32 v222, v222                               // 0000000089C4: 7FBC0BDE
	v_cvt_f32_i32_e32 v223, v223                               // 0000000089C8: 7FBE0BDF
	v_pk_mul_f32 v[220:221], v[42:43], v[220:221]              // 0000000089CC: D3B140DC 1803B92A
	v_pk_mul_f32 v[222:223], v[42:43], v[222:223]              // 0000000089D4: D3B140DE 1803BD2A
	v_mul_f32_dpp v220, v13, v220 row_newbcast:4 row_mask:0xf bank_mask:0xf// 0000000089DC: 0BB9B8FA FF01540D
	v_mul_f32_dpp v221, v13, v221 row_newbcast:5 row_mask:0xf bank_mask:0xf// 0000000089E4: 0BBBBAFA FF01550D
	v_mul_f32_dpp v222, v13, v222 row_newbcast:6 row_mask:0xf bank_mask:0xf// 0000000089EC: 0BBDBCFA FF01560D
	v_mul_f32_dpp v223, v13, v223 row_newbcast:7 row_mask:0xf bank_mask:0xf// 0000000089F4: 0BBFBEFA FF01570D
	v_pk_mul_f32 v[220:221], v[44:45], v[220:221]              // 0000000089FC: D3B140DC 1803B92C
	v_pk_mul_f32 v[222:223], v[44:45], v[222:223]              // 000000008A04: D3B140DE 1803BD2C
	v_cvt_f32_i32_e32 v228, v228                               // 000000008A0C: 7FC80BE4
	v_cvt_f32_i32_e32 v229, v229                               // 000000008A10: 7FCA0BE5
	v_cvt_f32_i32_e32 v230, v230                               // 000000008A14: 7FCC0BE6
	v_cvt_f32_i32_e32 v231, v231                               // 000000008A18: 7FCE0BE7
	v_pk_mul_f32 v[228:229], v[42:43], v[228:229]              // 000000008A1C: D3B140E4 1803C92A
	v_pk_mul_f32 v[230:231], v[42:43], v[230:231]              // 000000008A24: D3B140E6 1803CD2A
	v_mul_f32_dpp v228, v13, v228 row_newbcast:8 row_mask:0xf bank_mask:0xf// 000000008A2C: 0BC9C8FA FF01580D
	v_mul_f32_dpp v229, v13, v229 row_newbcast:9 row_mask:0xf bank_mask:0xf// 000000008A34: 0BCBCAFA FF01590D
	v_mul_f32_dpp v230, v13, v230 row_newbcast:10 row_mask:0xf bank_mask:0xf// 000000008A3C: 0BCDCCFA FF015A0D
	v_mul_f32_dpp v231, v13, v231 row_newbcast:11 row_mask:0xf bank_mask:0xf// 000000008A44: 0BCFCEFA FF015B0D
	v_pk_mul_f32 v[228:229], v[44:45], v[228:229]              // 000000008A4C: D3B140E4 1803C92C
	v_pk_mul_f32 v[230:231], v[44:45], v[230:231]              // 000000008A54: D3B140E6 1803CD2C
	v_cvt_f32_i32_e32 v236, v236                               // 000000008A5C: 7FD80BEC
	v_cvt_f32_i32_e32 v237, v237                               // 000000008A60: 7FDA0BED
	v_cvt_f32_i32_e32 v238, v238                               // 000000008A64: 7FDC0BEE
	v_cvt_f32_i32_e32 v239, v239                               // 000000008A68: 7FDE0BEF
	v_pk_mul_f32 v[236:237], v[42:43], v[236:237]              // 000000008A6C: D3B140EC 1803D92A
	v_pk_mul_f32 v[238:239], v[42:43], v[238:239]              // 000000008A74: D3B140EE 1803DD2A
	v_mul_f32_dpp v236, v13, v236 row_newbcast:12 row_mask:0xf bank_mask:0xf// 000000008A7C: 0BD9D8FA FF015C0D
	v_mul_f32_dpp v237, v13, v237 row_newbcast:13 row_mask:0xf bank_mask:0xf// 000000008A84: 0BDBDAFA FF015D0D
	v_mul_f32_dpp v238, v13, v238 row_newbcast:14 row_mask:0xf bank_mask:0xf// 000000008A8C: 0BDDDCFA FF015E0D
	v_mul_f32_dpp v239, v13, v239 row_newbcast:15 row_mask:0xf bank_mask:0xf// 000000008A94: 0BDFDEFA FF015F0D
	v_pk_mul_f32 v[236:237], v[44:45], v[236:237]              // 000000008A9C: D3B140EC 1803D92C
	v_pk_mul_f32 v[238:239], v[44:45], v[238:239]              // 000000008AA4: D3B140EE 1803DD2C
	v_cmp_u_f32_e64 s[48:49], v208, v208                       // 000000008AAC: D0480030 0003A1D0
	v_add3_u32 v50, v208, v53, 1                               // 000000008AB4: D1FF0032 02066BD0
	v_cndmask_b32_e64 v42, v50, v52, s[48:49]                  // 000000008ABC: D100002A 00C26932
	v_cmp_u_f32_e64 s[48:49], v209, v209                       // 000000008AC4: D0480030 0003A3D1
	v_add3_u32 v50, v209, v53, 1                               // 000000008ACC: D1FF0032 02066BD1
	v_cndmask_b32_e64 v43, v50, v52, s[48:49]                  // 000000008AD4: D100002B 00C26932
	v_perm_b32 v208, v43, v42, s52                             // 000000008ADC: D1ED00D0 00D2552B
	v_cmp_u_f32_e64 s[48:49], v210, v210                       // 000000008AE4: D0480030 0003A5D2
	v_add3_u32 v50, v210, v53, 1                               // 000000008AEC: D1FF0032 02066BD2
	v_cndmask_b32_e64 v42, v50, v52, s[48:49]                  // 000000008AF4: D100002A 00C26932
	v_cmp_u_f32_e64 s[48:49], v211, v211                       // 000000008AFC: D0480030 0003A7D3
	v_add3_u32 v50, v211, v53, 1                               // 000000008B04: D1FF0032 02066BD3
	v_cndmask_b32_e64 v43, v50, v52, s[48:49]                  // 000000008B0C: D100002B 00C26932
	v_perm_b32 v209, v43, v42, s52                             // 000000008B14: D1ED00D1 00D2552B
	v_cmp_u_f32_e64 s[48:49], v212, v212                       // 000000008B1C: D0480030 0003A9D4
	v_add3_u32 v50, v212, v53, 1                               // 000000008B24: D1FF0032 02066BD4
	v_cndmask_b32_e64 v42, v50, v52, s[48:49]                  // 000000008B2C: D100002A 00C26932
	v_cmp_u_f32_e64 s[48:49], v213, v213                       // 000000008B34: D0480030 0003ABD5
	v_add3_u32 v50, v213, v53, 1                               // 000000008B3C: D1FF0032 02066BD5
	v_cndmask_b32_e64 v43, v50, v52, s[48:49]                  // 000000008B44: D100002B 00C26932
	v_perm_b32 v210, v43, v42, s52                             // 000000008B4C: D1ED00D2 00D2552B
	v_cmp_u_f32_e64 s[48:49], v214, v214                       // 000000008B54: D0480030 0003ADD6
	v_add3_u32 v50, v214, v53, 1                               // 000000008B5C: D1FF0032 02066BD6
	v_cndmask_b32_e64 v42, v50, v52, s[48:49]                  // 000000008B64: D100002A 00C26932
	v_cmp_u_f32_e64 s[48:49], v215, v215                       // 000000008B6C: D0480030 0003AFD7
	v_add3_u32 v50, v215, v53, 1                               // 000000008B74: D1FF0032 02066BD7
	v_cndmask_b32_e64 v43, v50, v52, s[48:49]                  // 000000008B7C: D100002B 00C26932
	v_perm_b32 v211, v43, v42, s52                             // 000000008B84: D1ED00D3 00D2552B
	v_cmp_u_f32_e64 s[48:49], v216, v216                       // 000000008B8C: D0480030 0003B1D8
	v_add3_u32 v50, v216, v53, 1                               // 000000008B94: D1FF0032 02066BD8
	v_cndmask_b32_e64 v42, v50, v52, s[48:49]                  // 000000008B9C: D100002A 00C26932
	v_cmp_u_f32_e64 s[48:49], v217, v217                       // 000000008BA4: D0480030 0003B3D9
	v_add3_u32 v50, v217, v53, 1                               // 000000008BAC: D1FF0032 02066BD9
	v_cndmask_b32_e64 v43, v50, v52, s[48:49]                  // 000000008BB4: D100002B 00C26932
	v_perm_b32 v212, v43, v42, s52                             // 000000008BBC: D1ED00D4 00D2552B
	v_cmp_u_f32_e64 s[48:49], v218, v218                       // 000000008BC4: D0480030 0003B5DA
	v_add3_u32 v50, v218, v53, 1                               // 000000008BCC: D1FF0032 02066BDA
	v_cndmask_b32_e64 v42, v50, v52, s[48:49]                  // 000000008BD4: D100002A 00C26932
	v_cmp_u_f32_e64 s[48:49], v219, v219                       // 000000008BDC: D0480030 0003B7DB
	v_add3_u32 v50, v219, v53, 1                               // 000000008BE4: D1FF0032 02066BDB
	v_cndmask_b32_e64 v43, v50, v52, s[48:49]                  // 000000008BEC: D100002B 00C26932
	v_perm_b32 v213, v43, v42, s52                             // 000000008BF4: D1ED00D5 00D2552B
	v_cmp_u_f32_e64 s[48:49], v220, v220                       // 000000008BFC: D0480030 0003B9DC
	v_add3_u32 v50, v220, v53, 1                               // 000000008C04: D1FF0032 02066BDC
	v_cndmask_b32_e64 v42, v50, v52, s[48:49]                  // 000000008C0C: D100002A 00C26932
	v_cmp_u_f32_e64 s[48:49], v221, v221                       // 000000008C14: D0480030 0003BBDD
	v_add3_u32 v50, v221, v53, 1                               // 000000008C1C: D1FF0032 02066BDD
	v_cndmask_b32_e64 v43, v50, v52, s[48:49]                  // 000000008C24: D100002B 00C26932
	v_perm_b32 v214, v43, v42, s52                             // 000000008C2C: D1ED00D6 00D2552B
	v_cmp_u_f32_e64 s[48:49], v222, v222                       // 000000008C34: D0480030 0003BDDE
	v_add3_u32 v50, v222, v53, 1                               // 000000008C3C: D1FF0032 02066BDE
	v_cndmask_b32_e64 v42, v50, v52, s[48:49]                  // 000000008C44: D100002A 00C26932
	v_cmp_u_f32_e64 s[48:49], v223, v223                       // 000000008C4C: D0480030 0003BFDF
	v_add3_u32 v50, v223, v53, 1                               // 000000008C54: D1FF0032 02066BDF
	v_cndmask_b32_e64 v43, v50, v52, s[48:49]                  // 000000008C5C: D100002B 00C26932
	v_perm_b32 v215, v43, v42, s52                             // 000000008C64: D1ED00D7 00D2552B
	v_cmp_u_f32_e64 s[48:49], v224, v224                       // 000000008C6C: D0480030 0003C1E0
	v_add3_u32 v50, v224, v53, 1                               // 000000008C74: D1FF0032 02066BE0
	v_cndmask_b32_e64 v42, v50, v52, s[48:49]                  // 000000008C7C: D100002A 00C26932
	v_cmp_u_f32_e64 s[48:49], v225, v225                       // 000000008C84: D0480030 0003C3E1
	v_add3_u32 v50, v225, v53, 1                               // 000000008C8C: D1FF0032 02066BE1
	v_cndmask_b32_e64 v43, v50, v52, s[48:49]                  // 000000008C94: D100002B 00C26932
	v_perm_b32 v216, v43, v42, s52                             // 000000008C9C: D1ED00D8 00D2552B
	v_cmp_u_f32_e64 s[48:49], v226, v226                       // 000000008CA4: D0480030 0003C5E2
	v_add3_u32 v50, v226, v53, 1                               // 000000008CAC: D1FF0032 02066BE2
	v_cndmask_b32_e64 v42, v50, v52, s[48:49]                  // 000000008CB4: D100002A 00C26932
	v_cmp_u_f32_e64 s[48:49], v227, v227                       // 000000008CBC: D0480030 0003C7E3
	v_add3_u32 v50, v227, v53, 1                               // 000000008CC4: D1FF0032 02066BE3
	v_cndmask_b32_e64 v43, v50, v52, s[48:49]                  // 000000008CCC: D100002B 00C26932
	v_perm_b32 v217, v43, v42, s52                             // 000000008CD4: D1ED00D9 00D2552B
	v_cmp_u_f32_e64 s[48:49], v228, v228                       // 000000008CDC: D0480030 0003C9E4
	v_add3_u32 v50, v228, v53, 1                               // 000000008CE4: D1FF0032 02066BE4
	v_cndmask_b32_e64 v42, v50, v52, s[48:49]                  // 000000008CEC: D100002A 00C26932
	v_cmp_u_f32_e64 s[48:49], v229, v229                       // 000000008CF4: D0480030 0003CBE5
	v_add3_u32 v50, v229, v53, 1                               // 000000008CFC: D1FF0032 02066BE5
	v_cndmask_b32_e64 v43, v50, v52, s[48:49]                  // 000000008D04: D100002B 00C26932
	v_perm_b32 v218, v43, v42, s52                             // 000000008D0C: D1ED00DA 00D2552B
	v_cmp_u_f32_e64 s[48:49], v230, v230                       // 000000008D14: D0480030 0003CDE6
	v_add3_u32 v50, v230, v53, 1                               // 000000008D1C: D1FF0032 02066BE6
	v_cndmask_b32_e64 v42, v50, v52, s[48:49]                  // 000000008D24: D100002A 00C26932
	v_cmp_u_f32_e64 s[48:49], v231, v231                       // 000000008D2C: D0480030 0003CFE7
	v_add3_u32 v50, v231, v53, 1                               // 000000008D34: D1FF0032 02066BE7
	v_cndmask_b32_e64 v43, v50, v52, s[48:49]                  // 000000008D3C: D100002B 00C26932
	v_perm_b32 v219, v43, v42, s52                             // 000000008D44: D1ED00DB 00D2552B
	v_cmp_u_f32_e64 s[48:49], v232, v232                       // 000000008D4C: D0480030 0003D1E8
	v_add3_u32 v50, v232, v53, 1                               // 000000008D54: D1FF0032 02066BE8
	v_cndmask_b32_e64 v42, v50, v52, s[48:49]                  // 000000008D5C: D100002A 00C26932
	v_cmp_u_f32_e64 s[48:49], v233, v233                       // 000000008D64: D0480030 0003D3E9
	v_add3_u32 v50, v233, v53, 1                               // 000000008D6C: D1FF0032 02066BE9
	v_cndmask_b32_e64 v43, v50, v52, s[48:49]                  // 000000008D74: D100002B 00C26932
	v_perm_b32 v220, v43, v42, s52                             // 000000008D7C: D1ED00DC 00D2552B
	v_cmp_u_f32_e64 s[48:49], v234, v234                       // 000000008D84: D0480030 0003D5EA
	v_add3_u32 v50, v234, v53, 1                               // 000000008D8C: D1FF0032 02066BEA
	v_cndmask_b32_e64 v42, v50, v52, s[48:49]                  // 000000008D94: D100002A 00C26932
	v_cmp_u_f32_e64 s[48:49], v235, v235                       // 000000008D9C: D0480030 0003D7EB
	v_add3_u32 v50, v235, v53, 1                               // 000000008DA4: D1FF0032 02066BEB
	v_cndmask_b32_e64 v43, v50, v52, s[48:49]                  // 000000008DAC: D100002B 00C26932
	v_perm_b32 v221, v43, v42, s52                             // 000000008DB4: D1ED00DD 00D2552B
	v_cmp_u_f32_e64 s[48:49], v236, v236                       // 000000008DBC: D0480030 0003D9EC
	v_add3_u32 v50, v236, v53, 1                               // 000000008DC4: D1FF0032 02066BEC
	v_cndmask_b32_e64 v42, v50, v52, s[48:49]                  // 000000008DCC: D100002A 00C26932
	v_cmp_u_f32_e64 s[48:49], v237, v237                       // 000000008DD4: D0480030 0003DBED
	v_add3_u32 v50, v237, v53, 1                               // 000000008DDC: D1FF0032 02066BED
	v_cndmask_b32_e64 v43, v50, v52, s[48:49]                  // 000000008DE4: D100002B 00C26932
	v_perm_b32 v222, v43, v42, s52                             // 000000008DEC: D1ED00DE 00D2552B
	v_cmp_u_f32_e64 s[48:49], v238, v238                       // 000000008DF4: D0480030 0003DDEE
	v_add3_u32 v50, v238, v53, 1                               // 000000008DFC: D1FF0032 02066BEE
	v_cndmask_b32_e64 v42, v50, v52, s[48:49]                  // 000000008E04: D100002A 00C26932
	v_cmp_u_f32_e64 s[48:49], v239, v239                       // 000000008E0C: D0480030 0003DFEF
	v_add3_u32 v50, v239, v53, 1                               // 000000008E14: D1FF0032 02066BEF
	v_cndmask_b32_e64 v43, v50, v52, s[48:49]                  // 000000008E1C: D100002B 00C26932
	v_perm_b32 v223, v43, v42, s52                             // 000000008E24: D1ED00DF 00D2552B
	s_cmp_ge_u32 s80, 0x200                                    // 000000008E2C: BF09FF50 00000200
	s_cselect_b32 s59, 0x200, s59                              // 000000008E34: 853B3BFF 00000200
	s_setvskip s20, 0                                          // 000000008E3C: BF108014
	global_atomic_pk_add_bf16 v80, v64, s[8:9]                 // 000000008E40: DD488000 00084050
	s_setvskip 0, 0                                            // 000000008E48: BF108080
	s_setvskip s20, 0                                          // 000000008E4C: BF108014
	global_atomic_pk_add_bf16 v80, v65, s[8:9] offset:256      // 000000008E50: DD488100 00084150
	s_setvskip 0, 0                                            // 000000008E58: BF108080
	s_setvskip s20, 1                                          // 000000008E5C: BF108114
	global_atomic_pk_add_bf16 v82, v66, s[8:9]                 // 000000008E60: DD488000 00084252
	s_setvskip 0, 0                                            // 000000008E68: BF108080
	s_setvskip s20, 1                                          // 000000008E6C: BF108114
	global_atomic_pk_add_bf16 v82, v67, s[8:9] offset:256      // 000000008E70: DD488100 00084352
	s_setvskip 0, 0                                            // 000000008E78: BF108080
	s_setvskip s20, 2                                          // 000000008E7C: BF108214
	global_atomic_pk_add_bf16 v84, v68, s[8:9]                 // 000000008E80: DD488000 00084454
	s_setvskip 0, 0                                            // 000000008E88: BF108080
	s_setvskip s20, 2                                          // 000000008E8C: BF108214
	global_atomic_pk_add_bf16 v84, v69, s[8:9] offset:256      // 000000008E90: DD488100 00084554
	s_setvskip 0, 0                                            // 000000008E98: BF108080
	s_setvskip s20, 3                                          // 000000008E9C: BF108314
	global_atomic_pk_add_bf16 v86, v70, s[8:9]                 // 000000008EA0: DD488000 00084656
	s_setvskip 0, 0                                            // 000000008EA8: BF108080
	s_setvskip s20, 3                                          // 000000008EAC: BF108314
	global_atomic_pk_add_bf16 v86, v71, s[8:9] offset:256      // 000000008EB0: DD488100 00084756
	s_setvskip 0, 0                                            // 000000008EB8: BF108080
	s_setvskip s20, 4                                          // 000000008EBC: BF108414
	global_atomic_pk_add_bf16 v88, v72, s[8:9]                 // 000000008EC0: DD488000 00084858
	s_setvskip 0, 0                                            // 000000008EC8: BF108080
	s_setvskip s20, 4                                          // 000000008ECC: BF108414
	global_atomic_pk_add_bf16 v88, v73, s[8:9] offset:256      // 000000008ED0: DD488100 00084958
	s_setvskip 0, 0                                            // 000000008ED8: BF108080
	s_setvskip s20, 5                                          // 000000008EDC: BF108514
	global_atomic_pk_add_bf16 v90, v74, s[8:9]                 // 000000008EE0: DD488000 00084A5A
	s_setvskip 0, 0                                            // 000000008EE8: BF108080
	s_setvskip s20, 5                                          // 000000008EEC: BF108514
	global_atomic_pk_add_bf16 v90, v75, s[8:9] offset:256      // 000000008EF0: DD488100 00084B5A
	s_setvskip 0, 0                                            // 000000008EF8: BF108080
	s_setvskip s20, 6                                          // 000000008EFC: BF108614
	global_atomic_pk_add_bf16 v92, v76, s[8:9]                 // 000000008F00: DD488000 00084C5C
	s_setvskip 0, 0                                            // 000000008F08: BF108080
	s_setvskip s20, 6                                          // 000000008F0C: BF108614
	global_atomic_pk_add_bf16 v92, v77, s[8:9] offset:256      // 000000008F10: DD488100 00084D5C
	s_setvskip 0, 0                                            // 000000008F18: BF108080
	s_setvskip s20, 7                                          // 000000008F1C: BF108714
	global_atomic_pk_add_bf16 v94, v78, s[8:9]                 // 000000008F20: DD488000 00084E5E
	s_setvskip 0, 0                                            // 000000008F28: BF108080
	s_setvskip s20, 7                                          // 000000008F2C: BF108714
	global_atomic_pk_add_bf16 v94, v79, s[8:9] offset:256      // 000000008F30: DD488100 00084F5E
	s_setvskip 0, 0                                            // 000000008F38: BF108080
	s_add_u32 s8, s59, s8                                      // 000000008F3C: 8008083B
	s_addc_u32 s9, 0, s9                                       // 000000008F40: 82090980
	s_addk_i32 s80, 0x100                                      // 000000008F44: B7500100
	s_cmp_lt_i32 s80, s81                                      // 000000008F48: BF045150
	s_cbranch_scc0 label_1855                                  // 000000008F4C: BF840001
	s_branch label_1238                                        // 000000008F50: BF82F9E3

0000000000008f54 <label_1855>:
	s_nop 0                                                    // 000000008F54: BF800000
	s_nop 0                                                    // 000000008F58: BF800000
	s_branch label_2CA0                                        // 000000008F5C: BF821448

0000000000008f60 <label_1858>:
	v_mov_b32_e32 v248, v24                                    // 000000008F60: 7FF00318
	v_mov_b32_e32 v250, v25                                    // 000000008F64: 7FF40319
	v_mov_b32_e32 v249, v248                                   // 000000008F68: 7FF203F8
	v_mov_b32_e32 v251, v250                                   // 000000008F6C: 7FF603FA
	s_waitcnt vmcnt(16) lgkmcnt(0)                             // 000000008F70: BF8C4070
	s_barrier                                                  // 000000008F74: BF8A0000
	v_mfma_i32_16x16x32_i8 v[240:243], a[0:1], v[176:177], 0   // 000000008F78: D3D700F0 0A036100
	buffer_load_dwordx4 a[96:99], v36, s[92:95], 0 offen       // 000000008F80: E05C1000 80976024
	v_mfma_i32_16x16x32_i8 v[240:243], a[2:3], v[178:179], v[240:243]// 000000008F88: D3D700F0 0FC36502
	v_mfma_i32_16x16x32_i8 v[240:243], a[4:5], v[180:181], v[240:243]// 000000008F90: D3D700F0 0FC36904
	buffer_load_dword v28, s[20:23], 0 offen lds               // 000000008F98: E0511000 8005001C
	buffer_load_dword v28, s[20:23], 0 offen offset:256 lds    // 000000008FA0: E0511100 8005001C
	s_add_u32 m0, 0x820, s51                                   // 000000008FA8: 807C33FF 00000820
	v_mfma_i32_16x16x32_i8 v[240:243], a[6:7], v[182:183], v[240:243]// 000000008FB0: D3D700F0 0FC36D06
	v_mfma_i32_16x16x32_i8 v[240:243], a[8:9], v[184:185], v[240:243]// 000000008FB8: D3D700F0 0FC37108
	buffer_load_dwordx4 a[100:103], v36, s[92:95], 0 offen offset:1024// 000000008FC0: E05C1400 80976424
	v_mfma_i32_16x16x32_i8 v[240:243], a[10:11], v[186:187], v[240:243]// 000000008FC8: D3D700F0 0FC3750A
	v_mfma_i32_16x16x32_i8 v[240:243], a[12:13], v[188:189], v[240:243]// 000000008FD0: D3D700F0 0FC3790C
	buffer_load_dword v29, s[20:23], 0 offen lds               // 000000008FD8: E0511000 8005001D
	buffer_load_dword v29, s[20:23], 0 offen offset:256 lds    // 000000008FE0: E0511100 8005001D
	s_add_u32 m0, 0x1040, s51                                  // 000000008FE8: 807C33FF 00001040
	v_mfma_i32_16x16x32_i8 v[240:243], a[14:15], v[190:191], v[240:243]// 000000008FF0: D3D700F0 0FC37D0E
	v_mfma_i32_16x16x32_i8 v[244:247], a[0:1], v[192:193], 0   // 000000008FF8: D3D700F4 0A038100
	buffer_load_dwordx4 a[104:107], v36, s[92:95], 0 offen offset:2048// 000000009000: E05C1800 80976824
	v_mfma_i32_16x16x32_i8 v[244:247], a[2:3], v[194:195], v[244:247]// 000000009008: D3D700F4 0FD38502
	v_mfma_i32_16x16x32_i8 v[244:247], a[4:5], v[196:197], v[244:247]// 000000009010: D3D700F4 0FD38904
	buffer_load_dword v30, s[20:23], 0 offen lds               // 000000009018: E0511000 8005001E
	buffer_load_dword v30, s[20:23], 0 offen offset:256 lds    // 000000009020: E0511100 8005001E
	s_add_u32 m0, 0x1860, s51                                  // 000000009028: 807C33FF 00001860
	v_mfma_i32_16x16x32_i8 v[244:247], a[6:7], v[198:199], v[244:247]// 000000009030: D3D700F4 0FD38D06
	v_mfma_i32_16x16x32_i8 v[244:247], a[8:9], v[200:201], v[244:247]// 000000009038: D3D700F4 0FD39108
	buffer_load_dwordx4 a[108:111], v36, s[92:95], 0 offen offset:3072// 000000009040: E05C1C00 80976C24
	v_mfma_i32_16x16x32_i8 v[244:247], a[10:11], v[202:203], v[244:247]// 000000009048: D3D700F4 0FD3950A
	v_mfma_i32_16x16x32_i8 v[244:247], a[12:13], v[204:205], v[244:247]// 000000009050: D3D700F4 0FD3990C
	buffer_load_dword v31, s[20:23], 0 offen lds               // 000000009058: E0511000 8005001F
	buffer_load_dword v31, s[20:23], 0 offen offset:256 lds    // 000000009060: E0511100 8005001F
	s_add_u32 m0, 0x2080, s51                                  // 000000009068: 807C33FF 00002080
	v_mfma_i32_16x16x32_i8 v[244:247], a[14:15], v[206:207], v[244:247]// 000000009070: D3D700F4 0FD39D0E
	v_cvt_f32_i32_e32 v240, v240                               // 000000009078: 7FE00BF0
	v_cvt_f32_i32_e32 v241, v241                               // 00000000907C: 7FE20BF1
	v_cvt_f32_i32_e32 v242, v242                               // 000000009080: 7FE40BF2
	v_cvt_f32_i32_e32 v243, v243                               // 000000009084: 7FE60BF3
	v_pk_fma_f32 v[128:129], v[240:241], v[248:249], v[128:129]// 000000009088: D3B04080 1E03F1F0
	v_pk_fma_f32 v[130:131], v[242:243], v[248:249], v[130:131]// 000000009090: D3B04082 1E0BF1F2
	v_mfma_i32_16x16x32_i8 v[240:243], a[16:17], v[176:177], 0 // 000000009098: D3D700F0 0A036110
	buffer_load_dwordx4 a[112:115], v37, s[92:95], 0 offen     // 0000000090A0: E05C1000 80977025
	v_mfma_i32_16x16x32_i8 v[240:243], a[18:19], v[178:179], v[240:243]// 0000000090A8: D3D700F0 0FC36512
	v_mfma_i32_16x16x32_i8 v[240:243], a[20:21], v[180:181], v[240:243]// 0000000090B0: D3D700F0 0FC36914
	buffer_load_dword v32, s[20:23], 0 offen lds               // 0000000090B8: E0511000 80050020
	buffer_load_dword v32, s[20:23], 0 offen offset:256 lds    // 0000000090C0: E0511100 80050020
	s_add_u32 m0, 0x28a0, s51                                  // 0000000090C8: 807C33FF 000028A0
	v_mfma_i32_16x16x32_i8 v[240:243], a[22:23], v[182:183], v[240:243]// 0000000090D0: D3D700F0 0FC36D16
	v_mfma_i32_16x16x32_i8 v[240:243], a[24:25], v[184:185], v[240:243]// 0000000090D8: D3D700F0 0FC37118
	buffer_load_dwordx4 a[116:119], v37, s[92:95], 0 offen offset:1024// 0000000090E0: E05C1400 80977425
	v_mfma_i32_16x16x32_i8 v[240:243], a[26:27], v[186:187], v[240:243]// 0000000090E8: D3D700F0 0FC3751A
	v_mfma_i32_16x16x32_i8 v[240:243], a[28:29], v[188:189], v[240:243]// 0000000090F0: D3D700F0 0FC3791C
	buffer_load_dword v33, s[20:23], 0 offen lds               // 0000000090F8: E0511000 80050021
	buffer_load_dword v33, s[20:23], 0 offen offset:256 lds    // 000000009100: E0511100 80050021
	s_add_u32 m0, 0x30c0, s51                                  // 000000009108: 807C33FF 000030C0
	v_mfma_i32_16x16x32_i8 v[240:243], a[30:31], v[190:191], v[240:243]// 000000009110: D3D700F0 0FC37D1E
	v_cvt_f32_i32_e32 v244, v244                               // 000000009118: 7FE80BF4
	v_cvt_f32_i32_e32 v245, v245                               // 00000000911C: 7FEA0BF5
	v_cvt_f32_i32_e32 v246, v246                               // 000000009120: 7FEC0BF6
	v_cvt_f32_i32_e32 v247, v247                               // 000000009124: 7FEE0BF7
	v_pk_fma_f32 v[132:133], v[244:245], v[250:251], v[132:133]// 000000009128: D3B04084 1E13F5F4
	v_pk_fma_f32 v[134:135], v[246:247], v[250:251], v[134:135]// 000000009130: D3B04086 1E1BF5F6
	v_mfma_i32_16x16x32_i8 v[244:247], a[16:17], v[192:193], 0 // 000000009138: D3D700F4 0A038110
	buffer_load_dwordx4 a[120:123], v37, s[92:95], 0 offen offset:2048// 000000009140: E05C1800 80977825
	v_mfma_i32_16x16x32_i8 v[244:247], a[18:19], v[194:195], v[244:247]// 000000009148: D3D700F4 0FD38512
	v_mfma_i32_16x16x32_i8 v[244:247], a[20:21], v[196:197], v[244:247]// 000000009150: D3D700F4 0FD38914
	buffer_load_dword v34, s[20:23], 0 offen lds               // 000000009158: E0511000 80050022
	buffer_load_dword v34, s[20:23], 0 offen offset:256 lds    // 000000009160: E0511100 80050022
	s_add_u32 m0, 0x38e0, s51                                  // 000000009168: 807C33FF 000038E0
	v_mfma_i32_16x16x32_i8 v[244:247], a[22:23], v[198:199], v[244:247]// 000000009170: D3D700F4 0FD38D16
	v_mfma_i32_16x16x32_i8 v[244:247], a[24:25], v[200:201], v[244:247]// 000000009178: D3D700F4 0FD39118
	buffer_load_dwordx4 a[124:127], v37, s[92:95], 0 offen offset:3072// 000000009180: E05C1C00 80977C25
	v_mfma_i32_16x16x32_i8 v[244:247], a[26:27], v[202:203], v[244:247]// 000000009188: D3D700F4 0FD3951A
	v_mfma_i32_16x16x32_i8 v[244:247], a[28:29], v[204:205], v[244:247]// 000000009190: D3D700F4 0FD3991C
	buffer_load_dword v35, s[20:23], 0 offen lds               // 000000009198: E0511000 80050023
	buffer_load_dword v35, s[20:23], 0 offen offset:256 lds    // 0000000091A0: E0511100 80050023
	s_add_u32 m0, 0, s50                                       // 0000000091A8: 807C3280
	v_mfma_i32_16x16x32_i8 v[244:247], a[30:31], v[206:207], v[244:247]// 0000000091AC: D3D700F4 0FD39D1E
	buffer_load_dword v15, v6, s[28:31], 0 offen               // 0000000091B4: E0501000 80070F06
	v_cvt_f32_i32_e32 v240, v240                               // 0000000091BC: 7FE00BF0
	v_cvt_f32_i32_e32 v241, v241                               // 0000000091C0: 7FE20BF1
	v_cvt_f32_i32_e32 v242, v242                               // 0000000091C4: 7FE40BF2
	v_cvt_f32_i32_e32 v243, v243                               // 0000000091C8: 7FE60BF3
	v_pk_fma_f32 v[136:137], v[240:241], v[248:249], v[136:137]// 0000000091CC: D3B04088 1E23F1F0
	v_pk_fma_f32 v[138:139], v[242:243], v[248:249], v[138:139]// 0000000091D4: D3B0408A 1E2BF1F2
	s_waitcnt vmcnt(37)                                        // 0000000091DC: BF8C8F75
	v_mfma_i32_16x16x32_i8 v[240:243], a[32:33], v[176:177], 0 // 0000000091E0: D3D700F0 0A036120
	buffer_load_dwordx4 a[128:131], v38, s[92:95], 0 offen     // 0000000091E8: E05C1000 80978026
	v_mfma_i32_16x16x32_i8 v[240:243], a[34:35], v[178:179], v[240:243]// 0000000091F0: D3D700F0 0FC36522
	v_mfma_i32_16x16x32_i8 v[240:243], a[36:37], v[180:181], v[240:243]// 0000000091F8: D3D700F0 0FC36924
	v_mfma_i32_16x16x32_i8 v[240:243], a[38:39], v[182:183], v[240:243]// 000000009200: D3D700F0 0FC36D26
	v_mfma_i32_16x16x32_i8 v[240:243], a[40:41], v[184:185], v[240:243]// 000000009208: D3D700F0 0FC37128
	buffer_load_dwordx4 a[132:135], v38, s[92:95], 0 offen offset:1024// 000000009210: E05C1400 80978426
	v_mfma_i32_16x16x32_i8 v[240:243], a[42:43], v[186:187], v[240:243]// 000000009218: D3D700F0 0FC3752A
	v_mfma_i32_16x16x32_i8 v[240:243], a[44:45], v[188:189], v[240:243]// 000000009220: D3D700F0 0FC3792C
	v_mfma_i32_16x16x32_i8 v[240:243], a[46:47], v[190:191], v[240:243]// 000000009228: D3D700F0 0FC37D2E
	v_cvt_f32_i32_e32 v244, v244                               // 000000009230: 7FE80BF4
	v_cvt_f32_i32_e32 v245, v245                               // 000000009234: 7FEA0BF5
	v_cvt_f32_i32_e32 v246, v246                               // 000000009238: 7FEC0BF6
	v_cvt_f32_i32_e32 v247, v247                               // 00000000923C: 7FEE0BF7
	v_pk_fma_f32 v[140:141], v[244:245], v[250:251], v[140:141]// 000000009240: D3B0408C 1E33F5F4
	v_pk_fma_f32 v[142:143], v[246:247], v[250:251], v[142:143]// 000000009248: D3B0408E 1E3BF5F6
	v_mfma_i32_16x16x32_i8 v[244:247], a[32:33], v[192:193], 0 // 000000009250: D3D700F4 0A038120
	buffer_load_dwordx4 a[136:139], v38, s[92:95], 0 offen offset:2048// 000000009258: E05C1800 80978826
	v_mfma_i32_16x16x32_i8 v[244:247], a[34:35], v[194:195], v[244:247]// 000000009260: D3D700F4 0FD38522
	v_mfma_i32_16x16x32_i8 v[244:247], a[36:37], v[196:197], v[244:247]// 000000009268: D3D700F4 0FD38924
	v_mfma_i32_16x16x32_i8 v[244:247], a[38:39], v[198:199], v[244:247]// 000000009270: D3D700F4 0FD38D26
	v_mfma_i32_16x16x32_i8 v[244:247], a[40:41], v[200:201], v[244:247]// 000000009278: D3D700F4 0FD39128
	buffer_load_dwordx4 a[140:143], v38, s[92:95], 0 offen offset:3072// 000000009280: E05C1C00 80978C26
	v_mfma_i32_16x16x32_i8 v[244:247], a[42:43], v[202:203], v[244:247]// 000000009288: D3D700F4 0FD3952A
	v_mfma_i32_16x16x32_i8 v[244:247], a[44:45], v[204:205], v[244:247]// 000000009290: D3D700F4 0FD3992C
	v_mfma_i32_16x16x32_i8 v[244:247], a[46:47], v[206:207], v[244:247]// 000000009298: D3D700F4 0FD39D2E
	v_cvt_f32_i32_e32 v240, v240                               // 0000000092A0: 7FE00BF0
	v_cvt_f32_i32_e32 v241, v241                               // 0000000092A4: 7FE20BF1
	v_cvt_f32_i32_e32 v242, v242                               // 0000000092A8: 7FE40BF2
	v_cvt_f32_i32_e32 v243, v243                               // 0000000092AC: 7FE60BF3
	v_pk_fma_f32 v[144:145], v[240:241], v[248:249], v[144:145]// 0000000092B0: D3B04090 1E43F1F0
	v_pk_fma_f32 v[146:147], v[242:243], v[248:249], v[146:147]// 0000000092B8: D3B04092 1E4BF1F2
	s_waitcnt vmcnt(37)                                        // 0000000092C0: BF8C8F75
	v_mfma_i32_16x16x32_i8 v[240:243], a[48:49], v[176:177], 0 // 0000000092C4: D3D700F0 0A036130
	buffer_load_dwordx4 a[144:147], v39, s[92:95], 0 offen     // 0000000092CC: E05C1000 80979027
	v_mfma_i32_16x16x32_i8 v[240:243], a[50:51], v[178:179], v[240:243]// 0000000092D4: D3D700F0 0FC36532
	v_mfma_i32_16x16x32_i8 v[240:243], a[52:53], v[180:181], v[240:243]// 0000000092DC: D3D700F0 0FC36934
	v_mfma_i32_16x16x32_i8 v[240:243], a[54:55], v[182:183], v[240:243]// 0000000092E4: D3D700F0 0FC36D36
	v_mfma_i32_16x16x32_i8 v[240:243], a[56:57], v[184:185], v[240:243]// 0000000092EC: D3D700F0 0FC37138
	buffer_load_dwordx4 a[148:151], v39, s[92:95], 0 offen offset:1024// 0000000092F4: E05C1400 80979427
	v_mfma_i32_16x16x32_i8 v[240:243], a[58:59], v[186:187], v[240:243]// 0000000092FC: D3D700F0 0FC3753A
	v_mfma_i32_16x16x32_i8 v[240:243], a[60:61], v[188:189], v[240:243]// 000000009304: D3D700F0 0FC3793C
	v_mfma_i32_16x16x32_i8 v[240:243], a[62:63], v[190:191], v[240:243]// 00000000930C: D3D700F0 0FC37D3E
	v_cvt_f32_i32_e32 v244, v244                               // 000000009314: 7FE80BF4
	v_cvt_f32_i32_e32 v245, v245                               // 000000009318: 7FEA0BF5
	v_cvt_f32_i32_e32 v246, v246                               // 00000000931C: 7FEC0BF6
	v_cvt_f32_i32_e32 v247, v247                               // 000000009320: 7FEE0BF7
	v_pk_fma_f32 v[148:149], v[244:245], v[250:251], v[148:149]// 000000009324: D3B04094 1E53F5F4
	v_pk_fma_f32 v[150:151], v[246:247], v[250:251], v[150:151]// 00000000932C: D3B04096 1E5BF5F6
	v_mfma_i32_16x16x32_i8 v[244:247], a[48:49], v[192:193], 0 // 000000009334: D3D700F4 0A038130
	buffer_load_dwordx4 a[152:155], v39, s[92:95], 0 offen offset:2048// 00000000933C: E05C1800 80979827
	v_mfma_i32_16x16x32_i8 v[244:247], a[50:51], v[194:195], v[244:247]// 000000009344: D3D700F4 0FD38532
	v_mfma_i32_16x16x32_i8 v[244:247], a[52:53], v[196:197], v[244:247]// 00000000934C: D3D700F4 0FD38934
	v_mfma_i32_16x16x32_i8 v[244:247], a[54:55], v[198:199], v[244:247]// 000000009354: D3D700F4 0FD38D36
	v_mfma_i32_16x16x32_i8 v[244:247], a[56:57], v[200:201], v[244:247]// 00000000935C: D3D700F4 0FD39138
	buffer_load_dwordx4 a[156:159], v39, s[92:95], 0 offen offset:3072// 000000009364: E05C1C00 80979C27
	v_mfma_i32_16x16x32_i8 v[244:247], a[58:59], v[202:203], v[244:247]// 00000000936C: D3D700F4 0FD3953A
	v_mfma_i32_16x16x32_i8 v[244:247], a[60:61], v[204:205], v[244:247]// 000000009374: D3D700F4 0FD3993C
	v_mfma_i32_16x16x32_i8 v[244:247], a[62:63], v[206:207], v[244:247]// 00000000937C: D3D700F4 0FD39D3E
	v_cvt_f32_i32_e32 v240, v240                               // 000000009384: 7FE00BF0
	v_cvt_f32_i32_e32 v241, v241                               // 000000009388: 7FE20BF1
	v_cvt_f32_i32_e32 v242, v242                               // 00000000938C: 7FE40BF2
	v_cvt_f32_i32_e32 v243, v243                               // 000000009390: 7FE60BF3
	v_pk_fma_f32 v[152:153], v[240:241], v[248:249], v[152:153]// 000000009394: D3B04098 1E63F1F0
	v_pk_fma_f32 v[154:155], v[242:243], v[248:249], v[154:155]// 00000000939C: D3B0409A 1E6BF1F2
	s_waitcnt vmcnt(37)                                        // 0000000093A4: BF8C8F75
	v_mfma_i32_16x16x32_i8 v[240:243], a[64:65], v[176:177], 0 // 0000000093A8: D3D700F0 0A036140
	buffer_load_dwordx4 a[160:163], v40, s[92:95], 0 offen     // 0000000093B0: E05C1000 8097A028
	v_mfma_i32_16x16x32_i8 v[240:243], a[66:67], v[178:179], v[240:243]// 0000000093B8: D3D700F0 0FC36542
	v_mfma_i32_16x16x32_i8 v[240:243], a[68:69], v[180:181], v[240:243]// 0000000093C0: D3D700F0 0FC36944
	v_mfma_i32_16x16x32_i8 v[240:243], a[70:71], v[182:183], v[240:243]// 0000000093C8: D3D700F0 0FC36D46
	v_mfma_i32_16x16x32_i8 v[240:243], a[72:73], v[184:185], v[240:243]// 0000000093D0: D3D700F0 0FC37148
	buffer_load_dwordx4 a[164:167], v40, s[92:95], 0 offen offset:1024// 0000000093D8: E05C1400 8097A428
	v_mfma_i32_16x16x32_i8 v[240:243], a[74:75], v[186:187], v[240:243]// 0000000093E0: D3D700F0 0FC3754A
	v_mfma_i32_16x16x32_i8 v[240:243], a[76:77], v[188:189], v[240:243]// 0000000093E8: D3D700F0 0FC3794C
	v_mfma_i32_16x16x32_i8 v[240:243], a[78:79], v[190:191], v[240:243]// 0000000093F0: D3D700F0 0FC37D4E
	v_cvt_f32_i32_e32 v244, v244                               // 0000000093F8: 7FE80BF4
	v_cvt_f32_i32_e32 v245, v245                               // 0000000093FC: 7FEA0BF5
	v_cvt_f32_i32_e32 v246, v246                               // 000000009400: 7FEC0BF6
	v_cvt_f32_i32_e32 v247, v247                               // 000000009404: 7FEE0BF7
	v_pk_fma_f32 v[156:157], v[244:245], v[250:251], v[156:157]// 000000009408: D3B0409C 1E73F5F4
	v_pk_fma_f32 v[158:159], v[246:247], v[250:251], v[158:159]// 000000009410: D3B0409E 1E7BF5F6
	v_mfma_i32_16x16x32_i8 v[244:247], a[64:65], v[192:193], 0 // 000000009418: D3D700F4 0A038140
	buffer_load_dwordx4 a[168:171], v40, s[92:95], 0 offen offset:2048// 000000009420: E05C1800 8097A828
	v_mfma_i32_16x16x32_i8 v[244:247], a[66:67], v[194:195], v[244:247]// 000000009428: D3D700F4 0FD38542
	v_mfma_i32_16x16x32_i8 v[244:247], a[68:69], v[196:197], v[244:247]// 000000009430: D3D700F4 0FD38944
	v_mfma_i32_16x16x32_i8 v[244:247], a[70:71], v[198:199], v[244:247]// 000000009438: D3D700F4 0FD38D46
	v_mfma_i32_16x16x32_i8 v[244:247], a[72:73], v[200:201], v[244:247]// 000000009440: D3D700F4 0FD39148
	buffer_load_dwordx4 a[172:175], v40, s[92:95], 0 offen offset:3072// 000000009448: E05C1C00 8097AC28
	v_mfma_i32_16x16x32_i8 v[244:247], a[74:75], v[202:203], v[244:247]// 000000009450: D3D700F4 0FD3954A
	v_mfma_i32_16x16x32_i8 v[244:247], a[76:77], v[204:205], v[244:247]// 000000009458: D3D700F4 0FD3994C
	v_mfma_i32_16x16x32_i8 v[244:247], a[78:79], v[206:207], v[244:247]// 000000009460: D3D700F4 0FD39D4E
	v_cvt_f32_i32_e32 v240, v240                               // 000000009468: 7FE00BF0
	v_cvt_f32_i32_e32 v241, v241                               // 00000000946C: 7FE20BF1
	v_cvt_f32_i32_e32 v242, v242                               // 000000009470: 7FE40BF2
	v_cvt_f32_i32_e32 v243, v243                               // 000000009474: 7FE60BF3
	v_pk_fma_f32 v[160:161], v[240:241], v[248:249], v[160:161]// 000000009478: D3B040A0 1E83F1F0
	v_pk_fma_f32 v[162:163], v[242:243], v[248:249], v[162:163]// 000000009480: D3B040A2 1E8BF1F2
	s_waitcnt vmcnt(37)                                        // 000000009488: BF8C8F75
	v_mfma_i32_16x16x32_i8 v[240:243], a[80:81], v[176:177], 0 // 00000000948C: D3D700F0 0A036150
	buffer_load_dwordx4 a[176:179], v41, s[92:95], 0 offen     // 000000009494: E05C1000 8097B029
	v_mfma_i32_16x16x32_i8 v[240:243], a[82:83], v[178:179], v[240:243]// 00000000949C: D3D700F0 0FC36552
	v_mfma_i32_16x16x32_i8 v[240:243], a[84:85], v[180:181], v[240:243]// 0000000094A4: D3D700F0 0FC36954
	v_mfma_i32_16x16x32_i8 v[240:243], a[86:87], v[182:183], v[240:243]// 0000000094AC: D3D700F0 0FC36D56
	v_mfma_i32_16x16x32_i8 v[240:243], a[88:89], v[184:185], v[240:243]// 0000000094B4: D3D700F0 0FC37158
	buffer_load_dwordx4 a[180:183], v41, s[92:95], 0 offen offset:1024// 0000000094BC: E05C1400 8097B429
	v_mfma_i32_16x16x32_i8 v[240:243], a[90:91], v[186:187], v[240:243]// 0000000094C4: D3D700F0 0FC3755A
	v_mfma_i32_16x16x32_i8 v[240:243], a[92:93], v[188:189], v[240:243]// 0000000094CC: D3D700F0 0FC3795C
	v_mfma_i32_16x16x32_i8 v[240:243], a[94:95], v[190:191], v[240:243]// 0000000094D4: D3D700F0 0FC37D5E
	v_cvt_f32_i32_e32 v244, v244                               // 0000000094DC: 7FE80BF4
	v_cvt_f32_i32_e32 v245, v245                               // 0000000094E0: 7FEA0BF5
	v_cvt_f32_i32_e32 v246, v246                               // 0000000094E4: 7FEC0BF6
	v_cvt_f32_i32_e32 v247, v247                               // 0000000094E8: 7FEE0BF7
	v_pk_fma_f32 v[164:165], v[244:245], v[250:251], v[164:165]// 0000000094EC: D3B040A4 1E93F5F4
	v_pk_fma_f32 v[166:167], v[246:247], v[250:251], v[166:167]// 0000000094F4: D3B040A6 1E9BF5F6
	v_mfma_i32_16x16x32_i8 v[244:247], a[80:81], v[192:193], 0 // 0000000094FC: D3D700F4 0A038150
	buffer_load_dwordx4 a[184:187], v41, s[92:95], 0 offen offset:2048// 000000009504: E05C1800 8097B829
	v_mfma_i32_16x16x32_i8 v[244:247], a[82:83], v[194:195], v[244:247]// 00000000950C: D3D700F4 0FD38552
	v_mfma_i32_16x16x32_i8 v[244:247], a[84:85], v[196:197], v[244:247]// 000000009514: D3D700F4 0FD38954
	v_mfma_i32_16x16x32_i8 v[244:247], a[86:87], v[198:199], v[244:247]// 00000000951C: D3D700F4 0FD38D56
	v_mfma_i32_16x16x32_i8 v[244:247], a[88:89], v[200:201], v[244:247]// 000000009524: D3D700F4 0FD39158
	buffer_load_dwordx4 a[188:191], v41, s[92:95], 0 offen offset:3072// 00000000952C: E05C1C00 8097BC29
	v_mfma_i32_16x16x32_i8 v[244:247], a[90:91], v[202:203], v[244:247]// 000000009534: D3D700F4 0FD3955A
	v_mfma_i32_16x16x32_i8 v[244:247], a[92:93], v[204:205], v[244:247]// 00000000953C: D3D700F4 0FD3995C
	v_mfma_i32_16x16x32_i8 v[244:247], a[94:95], v[206:207], v[244:247]// 000000009544: D3D700F4 0FD39D5E
	v_cvt_f32_i32_e32 v240, v240                               // 00000000954C: 7FE00BF0
	v_cvt_f32_i32_e32 v241, v241                               // 000000009550: 7FE20BF1
	v_cvt_f32_i32_e32 v242, v242                               // 000000009554: 7FE40BF2
	v_cvt_f32_i32_e32 v243, v243                               // 000000009558: 7FE60BF3
	v_pk_fma_f32 v[168:169], v[240:241], v[248:249], v[168:169]// 00000000955C: D3B040A8 1EA3F1F0
	v_pk_fma_f32 v[170:171], v[242:243], v[248:249], v[170:171]// 000000009564: D3B040AA 1EABF1F2
	v_cvt_f32_i32_e32 v244, v244                               // 00000000956C: 7FE80BF4
	v_cvt_f32_i32_e32 v245, v245                               // 000000009570: 7FEA0BF5
	v_cvt_f32_i32_e32 v246, v246                               // 000000009574: 7FEC0BF6
	v_cvt_f32_i32_e32 v247, v247                               // 000000009578: 7FEE0BF7
	v_pk_fma_f32 v[172:173], v[244:245], v[250:251], v[172:173]// 00000000957C: D3B040AC 1EB3F5F4
	v_pk_fma_f32 v[174:175], v[246:247], v[250:251], v[174:175]// 000000009584: D3B040AE 1EBBF5F6
	s_waitcnt vmcnt(16)                                        // 00000000958C: BF8C4F70
	s_barrier                                                  // 000000009590: BF8A0000
	v_mfma_i32_16x16x32_i8 v[240:243], a[96:97], v[176:177], 0 // 000000009594: D3D700F0 0A036160
	buffer_load_dwordx4 a[0:3], v36, s[24:27], 0 offen         // 00000000959C: E05C1000 80860024
	v_mfma_i32_16x16x32_i8 v[240:243], a[98:99], v[178:179], v[240:243]// 0000000095A4: D3D700F0 0FC36562
	ds_read_b64 v[208:209], v2 offset:18688                    // 0000000095AC: D8EC4900 D0000002
	ds_read_b64 v[212:213], v2 offset:27008                    // 0000000095B4: D8EC6980 D4000002
	v_mfma_i32_16x16x32_i8 v[240:243], a[100:101], v[180:181], v[240:243]// 0000000095BC: D3D700F0 0FC36964
	v_mfma_i32_16x16x32_i8 v[240:243], a[102:103], v[182:183], v[240:243]// 0000000095C4: D3D700F0 0FC36D66
	ds_read_b64 v[216:217], v2 offset:18816                    // 0000000095CC: D8EC4980 D8000002
	ds_read_b64 v[220:221], v2 offset:27136                    // 0000000095D4: D8EC6A00 DC000002
	v_mfma_i32_16x16x32_i8 v[240:243], a[104:105], v[184:185], v[240:243]// 0000000095DC: D3D700F0 0FC37168
	buffer_load_dwordx4 a[4:7], v36, s[24:27], 0 offen offset:1024// 0000000095E4: E05C1400 80860424
	v_mfma_i32_16x16x32_i8 v[240:243], a[106:107], v[186:187], v[240:243]// 0000000095EC: D3D700F0 0FC3756A
	ds_read_b64 v[224:225], v2 offset:18944                    // 0000000095F4: D8EC4A00 E0000002
	ds_read_b64 v[228:229], v2 offset:27264                    // 0000000095FC: D8EC6A80 E4000002
	v_mfma_i32_16x16x32_i8 v[240:243], a[108:109], v[188:189], v[240:243]// 000000009604: D3D700F0 0FC3796C
	v_mfma_i32_16x16x32_i8 v[240:243], a[110:111], v[190:191], v[240:243]// 00000000960C: D3D700F0 0FC37D6E
	ds_read_b64 v[232:233], v2 offset:19072                    // 000000009614: D8EC4A80 E8000002
	ds_read_b64 v[236:237], v2 offset:27392                    // 00000000961C: D8EC6B00 EC000002
	s_waitcnt lgkmcnt(4)                                       // 000000009624: BF8CC47F
	v_and_b32_e32 v211, 0xffff0000, v209                       // 000000009628: 27A7A2FF FFFF0000
	v_lshlrev_b32_e32 v210, 16, v209                           // 000000009630: 25A5A290
	v_and_b32_e32 v209, 0xffff0000, v208                       // 000000009634: 27A3A0FF FFFF0000
	v_lshlrev_b32_e32 v208, 16, v208                           // 00000000963C: 25A1A090
	v_and_b32_e32 v215, 0xffff0000, v213                       // 000000009640: 27AFAAFF FFFF0000
	v_lshlrev_b32_e32 v214, 16, v213                           // 000000009648: 25ADAA90
	v_and_b32_e32 v213, 0xffff0000, v212                       // 00000000964C: 27ABA8FF FFFF0000
	v_lshlrev_b32_e32 v212, 16, v212                           // 000000009654: 25A9A890
	v_and_b32_e32 v219, 0xffff0000, v217                       // 000000009658: 27B7B2FF FFFF0000
	v_lshlrev_b32_e32 v218, 16, v217                           // 000000009660: 25B5B290
	v_and_b32_e32 v217, 0xffff0000, v216                       // 000000009664: 27B3B0FF FFFF0000
	v_lshlrev_b32_e32 v216, 16, v216                           // 00000000966C: 25B1B090
	v_and_b32_e32 v223, 0xffff0000, v221                       // 000000009670: 27BFBAFF FFFF0000
	v_lshlrev_b32_e32 v222, 16, v221                           // 000000009678: 25BDBA90
	v_and_b32_e32 v221, 0xffff0000, v220                       // 00000000967C: 27BBB8FF FFFF0000
	v_lshlrev_b32_e32 v220, 16, v220                           // 000000009684: 25B9B890
	v_mul_f32_dpp v208, v15, v208 row_newbcast:0 row_mask:0xf bank_mask:0xf// 000000009688: 0BA1A0FA FF01500F
	v_mul_f32_dpp v209, v15, v209 row_newbcast:1 row_mask:0xf bank_mask:0xf// 000000009690: 0BA3A2FA FF01510F
	v_mul_f32_dpp v210, v15, v210 row_newbcast:2 row_mask:0xf bank_mask:0xf// 000000009698: 0BA5A4FA FF01520F
	v_mul_f32_dpp v211, v15, v211 row_newbcast:3 row_mask:0xf bank_mask:0xf// 0000000096A0: 0BA7A6FA FF01530F
	v_mul_f32_dpp v212, v15, v212 row_newbcast:0 row_mask:0xf bank_mask:0xf// 0000000096A8: 0BA9A8FA FF01500F
	v_mul_f32_dpp v213, v15, v213 row_newbcast:1 row_mask:0xf bank_mask:0xf// 0000000096B0: 0BABAAFA FF01510F
	v_mul_f32_dpp v214, v15, v214 row_newbcast:2 row_mask:0xf bank_mask:0xf// 0000000096B8: 0BADACFA FF01520F
	v_mul_f32_dpp v215, v15, v215 row_newbcast:3 row_mask:0xf bank_mask:0xf// 0000000096C0: 0BAFAEFA FF01530F
	v_mul_f32_dpp v216, v15, v216 row_newbcast:4 row_mask:0xf bank_mask:0xf// 0000000096C8: 0BB1B0FA FF01540F
	v_mul_f32_dpp v217, v15, v217 row_newbcast:5 row_mask:0xf bank_mask:0xf// 0000000096D0: 0BB3B2FA FF01550F
	v_mul_f32_dpp v218, v15, v218 row_newbcast:6 row_mask:0xf bank_mask:0xf// 0000000096D8: 0BB5B4FA FF01560F
	v_mul_f32_dpp v219, v15, v219 row_newbcast:7 row_mask:0xf bank_mask:0xf// 0000000096E0: 0BB7B6FA FF01570F
	v_mul_f32_dpp v220, v15, v220 row_newbcast:4 row_mask:0xf bank_mask:0xf// 0000000096E8: 0BB9B8FA FF01540F
	v_mul_f32_dpp v221, v15, v221 row_newbcast:5 row_mask:0xf bank_mask:0xf// 0000000096F0: 0BBBBAFA FF01550F
	v_mul_f32_dpp v222, v15, v222 row_newbcast:6 row_mask:0xf bank_mask:0xf// 0000000096F8: 0BBDBCFA FF01560F
	v_mul_f32_dpp v223, v15, v223 row_newbcast:7 row_mask:0xf bank_mask:0xf// 000000009700: 0BBFBEFA FF01570F
	v_mfma_i32_16x16x32_i8 v[244:247], a[96:97], v[192:193], 0 // 000000009708: D3D700F4 0A038160
	buffer_load_dwordx4 a[8:11], v36, s[24:27], 0 offen offset:2048// 000000009710: E05C1800 80860824
	v_mfma_i32_16x16x32_i8 v[244:247], a[98:99], v[194:195], v[244:247]// 000000009718: D3D700F4 0FD38562
	v_mfma_i32_16x16x32_i8 v[244:247], a[100:101], v[196:197], v[244:247]// 000000009720: D3D700F4 0FD38964
	v_mfma_i32_16x16x32_i8 v[244:247], a[102:103], v[198:199], v[244:247]// 000000009728: D3D700F4 0FD38D66
	v_mfma_i32_16x16x32_i8 v[244:247], a[104:105], v[200:201], v[244:247]// 000000009730: D3D700F4 0FD39168
	buffer_load_dwordx4 a[12:15], v36, s[24:27], 0 offen offset:3072// 000000009738: E05C1C00 80860C24
	v_mfma_i32_16x16x32_i8 v[244:247], a[106:107], v[202:203], v[244:247]// 000000009740: D3D700F4 0FD3956A
	v_mfma_i32_16x16x32_i8 v[244:247], a[108:109], v[204:205], v[244:247]// 000000009748: D3D700F4 0FD3996C
	v_mfma_i32_16x16x32_i8 v[244:247], a[110:111], v[206:207], v[244:247]// 000000009750: D3D700F4 0FD39D6E
	s_waitcnt lgkmcnt(0)                                       // 000000009758: BF8CC07F
	v_and_b32_e32 v227, 0xffff0000, v225                       // 00000000975C: 27C7C2FF FFFF0000
	v_lshlrev_b32_e32 v226, 16, v225                           // 000000009764: 25C5C290
	v_and_b32_e32 v225, 0xffff0000, v224                       // 000000009768: 27C3C0FF FFFF0000
	v_lshlrev_b32_e32 v224, 16, v224                           // 000000009770: 25C1C090
	v_and_b32_e32 v231, 0xffff0000, v229                       // 000000009774: 27CFCAFF FFFF0000
	v_lshlrev_b32_e32 v230, 16, v229                           // 00000000977C: 25CDCA90
	v_and_b32_e32 v229, 0xffff0000, v228                       // 000000009780: 27CBC8FF FFFF0000
	v_lshlrev_b32_e32 v228, 16, v228                           // 000000009788: 25C9C890
	v_and_b32_e32 v235, 0xffff0000, v233                       // 00000000978C: 27D7D2FF FFFF0000
	v_lshlrev_b32_e32 v234, 16, v233                           // 000000009794: 25D5D290
	v_and_b32_e32 v233, 0xffff0000, v232                       // 000000009798: 27D3D0FF FFFF0000
	v_lshlrev_b32_e32 v232, 16, v232                           // 0000000097A0: 25D1D090
	v_and_b32_e32 v239, 0xffff0000, v237                       // 0000000097A4: 27DFDAFF FFFF0000
	v_lshlrev_b32_e32 v238, 16, v237                           // 0000000097AC: 25DDDA90
	v_and_b32_e32 v237, 0xffff0000, v236                       // 0000000097B0: 27DBD8FF FFFF0000
	v_lshlrev_b32_e32 v236, 16, v236                           // 0000000097B8: 25D9D890
	v_mul_f32_dpp v224, v15, v224 row_newbcast:8 row_mask:0xf bank_mask:0xf// 0000000097BC: 0BC1C0FA FF01580F
	v_mul_f32_dpp v225, v15, v225 row_newbcast:9 row_mask:0xf bank_mask:0xf// 0000000097C4: 0BC3C2FA FF01590F
	v_mul_f32_dpp v226, v15, v226 row_newbcast:10 row_mask:0xf bank_mask:0xf// 0000000097CC: 0BC5C4FA FF015A0F
	v_mul_f32_dpp v227, v15, v227 row_newbcast:11 row_mask:0xf bank_mask:0xf// 0000000097D4: 0BC7C6FA FF015B0F
	v_mul_f32_dpp v228, v15, v228 row_newbcast:8 row_mask:0xf bank_mask:0xf// 0000000097DC: 0BC9C8FA FF01580F
	v_mul_f32_dpp v229, v15, v229 row_newbcast:9 row_mask:0xf bank_mask:0xf// 0000000097E4: 0BCBCAFA FF01590F
	v_mul_f32_dpp v230, v15, v230 row_newbcast:10 row_mask:0xf bank_mask:0xf// 0000000097EC: 0BCDCCFA FF015A0F
	v_mul_f32_dpp v231, v15, v231 row_newbcast:11 row_mask:0xf bank_mask:0xf// 0000000097F4: 0BCFCEFA FF015B0F
	v_mul_f32_dpp v232, v15, v232 row_newbcast:12 row_mask:0xf bank_mask:0xf// 0000000097FC: 0BD1D0FA FF015C0F
	v_mul_f32_dpp v233, v15, v233 row_newbcast:13 row_mask:0xf bank_mask:0xf// 000000009804: 0BD3D2FA FF015D0F
	v_mul_f32_dpp v234, v15, v234 row_newbcast:14 row_mask:0xf bank_mask:0xf// 00000000980C: 0BD5D4FA FF015E0F
	v_mul_f32_dpp v235, v15, v235 row_newbcast:15 row_mask:0xf bank_mask:0xf// 000000009814: 0BD7D6FA FF015F0F
	v_mul_f32_dpp v236, v15, v236 row_newbcast:12 row_mask:0xf bank_mask:0xf// 00000000981C: 0BD9D8FA FF015C0F
	v_mul_f32_dpp v237, v15, v237 row_newbcast:13 row_mask:0xf bank_mask:0xf// 000000009824: 0BDBDAFA FF015D0F
	v_mul_f32_dpp v238, v15, v238 row_newbcast:14 row_mask:0xf bank_mask:0xf// 00000000982C: 0BDDDCFA FF015E0F
	v_mul_f32_dpp v239, v15, v239 row_newbcast:15 row_mask:0xf bank_mask:0xf// 000000009834: 0BDFDEFA FF015F0F
	v_cvt_f32_i32_e32 v240, v240                               // 00000000983C: 7FE00BF0
	v_cvt_f32_i32_e32 v241, v241                               // 000000009840: 7FE20BF1
	v_cvt_f32_i32_e32 v242, v242                               // 000000009844: 7FE40BF2
	v_cvt_f32_i32_e32 v243, v243                               // 000000009848: 7FE60BF3
	v_pk_fma_f32 v[64:65], v[240:241], v[248:249], v[64:65]    // 00000000984C: D3B04040 1D03F1F0
	v_pk_fma_f32 v[66:67], v[242:243], v[248:249], v[66:67]    // 000000009854: D3B04042 1D0BF1F2
	v_mfma_i32_16x16x32_i8 v[240:243], a[112:113], v[176:177], 0// 00000000985C: D3D700F0 0A036170
	buffer_load_dwordx4 a[16:19], v37, s[24:27], 0 offen       // 000000009864: E05C1000 80861025
	v_mfma_i32_16x16x32_i8 v[240:243], a[114:115], v[178:179], v[240:243]// 00000000986C: D3D700F0 0FC36572
	v_mov_b32_e32 v46, 0x358637bd                              // 000000009874: 7E5C02FF 358637BD
	v_mov_b32_e32 v47, 0x358637bd                              // 00000000987C: 7E5E02FF 358637BD
	v_max3_f32 v46, |v208|, |v209|, v46                        // 000000009884: D1D3032E 04BBA3D0
	v_max3_f32 v46, |v210|, |v211|, v46                        // 00000000988C: D1D3032E 04BBA7D2
	v_max3_f32 v47, |v212|, |v213|, v47                        // 000000009894: D1D3032F 04BFABD4
	v_max3_f32 v47, |v214|, |v215|, v47                        // 00000000989C: D1D3032F 04BFAFD6
	v_max3_f32 v46, |v216|, |v217|, v46                        // 0000000098A4: D1D3032E 04BBB3D8
	v_max3_f32 v46, |v218|, |v219|, v46                        // 0000000098AC: D1D3032E 04BBB7DA
	v_max3_f32 v47, |v220|, |v221|, v47                        // 0000000098B4: D1D3032F 04BFBBDC
	v_max3_f32 v47, |v222|, |v223|, v47                        // 0000000098BC: D1D3032F 04BFBFDE
	v_max3_f32 v46, |v224|, |v225|, v46                        // 0000000098C4: D1D3032E 04BBC3E0
	v_max3_f32 v46, |v226|, |v227|, v46                        // 0000000098CC: D1D3032E 04BBC7E2
	v_max3_f32 v47, |v228|, |v229|, v47                        // 0000000098D4: D1D3032F 04BFCBE4
	v_max3_f32 v47, |v230|, |v231|, v47                        // 0000000098DC: D1D3032F 04BFCFE6
	v_max3_f32 v46, |v232|, |v233|, v46                        // 0000000098E4: D1D3032E 04BBD3E8
	v_max3_f32 v46, |v234|, |v235|, v46                        // 0000000098EC: D1D3032E 04BBD7EA
	v_max3_f32 v47, |v236|, |v237|, v47                        // 0000000098F4: D1D3032F 04BFDBEC
	v_max3_f32 v47, |v238|, |v239|, v47                        // 0000000098FC: D1D3032F 04BFDFEE
	v_mfma_i32_16x16x32_i8 v[240:243], a[116:117], v[180:181], v[240:243]// 000000009904: D3D700F0 0FC36974
	v_mfma_i32_16x16x32_i8 v[240:243], a[118:119], v[182:183], v[240:243]// 00000000990C: D3D700F0 0FC36D76
	ds_write_b64 v3, v[46:47]                                  // 000000009914: D89A0000 00002E03
	v_mfma_i32_16x16x32_i8 v[240:243], a[120:121], v[184:185], v[240:243]// 00000000991C: D3D700F0 0FC37178
	buffer_load_dwordx4 a[20:23], v37, s[24:27], 0 offen offset:1024// 000000009924: E05C1400 80861425
	v_mfma_i32_16x16x32_i8 v[240:243], a[122:123], v[186:187], v[240:243]// 00000000992C: D3D700F0 0FC3757A
	s_waitcnt lgkmcnt(0)                                       // 000000009934: BF8CC07F
	s_barrier                                                  // 000000009938: BF8A0000
	v_mfma_i32_16x16x32_i8 v[240:243], a[124:125], v[188:189], v[240:243]// 00000000993C: D3D700F0 0FC3797C
	v_mfma_i32_16x16x32_i8 v[240:243], a[126:127], v[190:191], v[240:243]// 000000009944: D3D700F0 0FC37D7E
	ds_read_b64 v[46:47], v4                                   // 00000000994C: D8EC0000 2E000004
	ds_read_b64 v[48:49], v4 offset:128                        // 000000009954: D8EC0080 30000004
	v_cvt_f32_i32_e32 v244, v244                               // 00000000995C: 7FE80BF4
	v_cvt_f32_i32_e32 v245, v245                               // 000000009960: 7FEA0BF5
	v_cvt_f32_i32_e32 v246, v246                               // 000000009964: 7FEC0BF6
	v_cvt_f32_i32_e32 v247, v247                               // 000000009968: 7FEE0BF7
	v_pk_fma_f32 v[68:69], v[244:245], v[250:251], v[68:69]    // 00000000996C: D3B04044 1D13F5F4
	v_pk_fma_f32 v[70:71], v[246:247], v[250:251], v[70:71]    // 000000009974: D3B04046 1D1BF5F6
	v_mfma_i32_16x16x32_i8 v[244:247], a[112:113], v[192:193], 0// 00000000997C: D3D700F4 0A038170
	buffer_load_dwordx4 a[24:27], v37, s[24:27], 0 offen offset:2048// 000000009984: E05C1800 80861825
	v_mfma_i32_16x16x32_i8 v[244:247], a[114:115], v[194:195], v[244:247]// 00000000998C: D3D700F4 0FD38572
	ds_read_b64 v[50:51], v4 offset:256                        // 000000009994: D8EC0100 32000004
	ds_read_b64 v[52:53], v4 offset:384                        // 00000000999C: D8EC0180 34000004
	v_mfma_i32_16x16x32_i8 v[244:247], a[116:117], v[196:197], v[244:247]// 0000000099A4: D3D700F4 0FD38974
	v_mfma_i32_16x16x32_i8 v[244:247], a[118:119], v[198:199], v[244:247]// 0000000099AC: D3D700F4 0FD38D76
	ds_read_b64 v[54:55], v4 offset:512                        // 0000000099B4: D8EC0200 36000004
	ds_read_b64 v[56:57], v4 offset:640                        // 0000000099BC: D8EC0280 38000004
	v_mfma_i32_16x16x32_i8 v[244:247], a[120:121], v[200:201], v[244:247]// 0000000099C4: D3D700F4 0FD39178
	buffer_load_dwordx4 a[28:31], v37, s[24:27], 0 offen offset:3072// 0000000099CC: E05C1C00 80861C25
	v_mfma_i32_16x16x32_i8 v[244:247], a[122:123], v[202:203], v[244:247]// 0000000099D4: D3D700F4 0FD3957A
	ds_read_b64 v[58:59], v4 offset:768                        // 0000000099DC: D8EC0300 3A000004
	ds_read_b64 v[60:61], v4 offset:896                        // 0000000099E4: D8EC0380 3C000004
	v_mfma_i32_16x16x32_i8 v[244:247], a[124:125], v[204:205], v[244:247]// 0000000099EC: D3D700F4 0FD3997C
	v_mfma_i32_16x16x32_i8 v[244:247], a[126:127], v[206:207], v[244:247]// 0000000099F4: D3D700F4 0FD39D7E
	v_cvt_f32_i32_e32 v240, v240                               // 0000000099FC: 7FE00BF0
	v_cvt_f32_i32_e32 v241, v241                               // 000000009A00: 7FE20BF1
	v_cvt_f32_i32_e32 v242, v242                               // 000000009A04: 7FE40BF2
	v_cvt_f32_i32_e32 v243, v243                               // 000000009A08: 7FE60BF3
	v_pk_fma_f32 v[72:73], v[240:241], v[248:249], v[72:73]    // 000000009A0C: D3B04048 1D23F1F0
	v_pk_fma_f32 v[74:75], v[242:243], v[248:249], v[74:75]    // 000000009A14: D3B0404A 1D2BF1F2
	s_waitcnt vmcnt(20)                                        // 000000009A1C: BF8C4F74
	v_mfma_i32_16x16x32_i8 v[240:243], a[128:129], v[176:177], 0// 000000009A20: D3D700F0 0A036180
	buffer_load_dwordx4 a[32:35], v38, s[24:27], 0 offen       // 000000009A28: E05C1000 80862026
	v_mfma_i32_16x16x32_i8 v[240:243], a[130:131], v[178:179], v[240:243]// 000000009A30: D3D700F0 0FC36582
	s_waitcnt lgkmcnt(0)                                       // 000000009A38: BF8CC07F
	v_mov_b32_e32 v22, 0x358637bd                              // 000000009A3C: 7E2C02FF 358637BD
	v_mov_b32_e32 v23, 0x358637bd                              // 000000009A44: 7E2E02FF 358637BD
	v_max3_f32 v22, |v46|, |v48|, v22                          // 000000009A4C: D1D30316 045A612E
	v_max3_f32 v23, |v47|, |v49|, v23                          // 000000009A54: D1D30317 045E632F
	v_max3_f32 v22, |v50|, |v52|, v22                          // 000000009A5C: D1D30316 045A6932
	v_max3_f32 v23, |v51|, |v53|, v23                          // 000000009A64: D1D30317 045E6B33
	v_max3_f32 v22, |v54|, |v56|, v22                          // 000000009A6C: D1D30316 045A7136
	v_max3_f32 v23, |v55|, |v57|, v23                          // 000000009A74: D1D30317 045E7337
	v_max3_f32 v22, |v58|, |v60|, v22                          // 000000009A7C: D1D30316 045A793A
	v_max3_f32 v23, |v59|, |v61|, v23                          // 000000009A84: D1D30317 045E7B3B
	v_mfma_i32_16x16x32_i8 v[240:243], a[132:133], v[180:181], v[240:243]// 000000009A8C: D3D700F0 0FC36984
	v_mfma_i32_16x16x32_i8 v[240:243], a[134:135], v[182:183], v[240:243]// 000000009A94: D3D700F0 0FC36D86
	ds_read_b64 v[46:47], v4 offset:1024                       // 000000009A9C: D8EC0400 2E000004
	ds_read_b64 v[48:49], v4 offset:1152                       // 000000009AA4: D8EC0480 30000004
	v_mfma_i32_16x16x32_i8 v[240:243], a[136:137], v[184:185], v[240:243]// 000000009AAC: D3D700F0 0FC37188
	buffer_load_dwordx4 a[36:39], v38, s[24:27], 0 offen offset:1024// 000000009AB4: E05C1400 80862426
	v_mfma_i32_16x16x32_i8 v[240:243], a[138:139], v[186:187], v[240:243]// 000000009ABC: D3D700F0 0FC3758A
	ds_read_b64 v[50:51], v4 offset:1280                       // 000000009AC4: D8EC0500 32000004
	ds_read_b64 v[52:53], v4 offset:1408                       // 000000009ACC: D8EC0580 34000004
	v_mfma_i32_16x16x32_i8 v[240:243], a[140:141], v[188:189], v[240:243]// 000000009AD4: D3D700F0 0FC3798C
	v_mfma_i32_16x16x32_i8 v[240:243], a[142:143], v[190:191], v[240:243]// 000000009ADC: D3D700F0 0FC37D8E
	ds_read_b64 v[54:55], v4 offset:1536                       // 000000009AE4: D8EC0600 36000004
	ds_read_b64 v[56:57], v4 offset:1664                       // 000000009AEC: D8EC0680 38000004
	v_cvt_f32_i32_e32 v244, v244                               // 000000009AF4: 7FE80BF4
	v_cvt_f32_i32_e32 v245, v245                               // 000000009AF8: 7FEA0BF5
	v_cvt_f32_i32_e32 v246, v246                               // 000000009AFC: 7FEC0BF6
	v_cvt_f32_i32_e32 v247, v247                               // 000000009B00: 7FEE0BF7
	v_pk_fma_f32 v[76:77], v[244:245], v[250:251], v[76:77]    // 000000009B04: D3B0404C 1D33F5F4
	v_pk_fma_f32 v[78:79], v[246:247], v[250:251], v[78:79]    // 000000009B0C: D3B0404E 1D3BF5F6
	v_mfma_i32_16x16x32_i8 v[244:247], a[128:129], v[192:193], 0// 000000009B14: D3D700F4 0A038180
	buffer_load_dwordx4 a[40:43], v38, s[24:27], 0 offen offset:2048// 000000009B1C: E05C1800 80862826
	v_mfma_i32_16x16x32_i8 v[244:247], a[130:131], v[194:195], v[244:247]// 000000009B24: D3D700F4 0FD38582
	ds_read_b64 v[58:59], v4 offset:1792                       // 000000009B2C: D8EC0700 3A000004
	ds_read_b64 v[60:61], v4 offset:1920                       // 000000009B34: D8EC0780 3C000004
	v_mfma_i32_16x16x32_i8 v[244:247], a[132:133], v[196:197], v[244:247]// 000000009B3C: D3D700F4 0FD38984
	v_mfma_i32_16x16x32_i8 v[244:247], a[134:135], v[198:199], v[244:247]// 000000009B44: D3D700F4 0FD38D86
	v_mfma_i32_16x16x32_i8 v[244:247], a[136:137], v[200:201], v[244:247]// 000000009B4C: D3D700F4 0FD39188
	buffer_load_dwordx4 a[44:47], v38, s[24:27], 0 offen offset:3072// 000000009B54: E05C1C00 80862C26
	v_mfma_i32_16x16x32_i8 v[244:247], a[138:139], v[202:203], v[244:247]// 000000009B5C: D3D700F4 0FD3958A
	s_waitcnt lgkmcnt(0)                                       // 000000009B64: BF8CC07F
	v_max3_f32 v22, |v46|, |v48|, v22                          // 000000009B68: D1D30316 045A612E
	v_max3_f32 v23, |v47|, |v49|, v23                          // 000000009B70: D1D30317 045E632F
	v_max3_f32 v22, |v50|, |v52|, v22                          // 000000009B78: D1D30316 045A6932
	v_max3_f32 v23, |v51|, |v53|, v23                          // 000000009B80: D1D30317 045E6B33
	v_max3_f32 v22, |v54|, |v56|, v22                          // 000000009B88: D1D30316 045A7136
	v_max3_f32 v23, |v55|, |v57|, v23                          // 000000009B90: D1D30317 045E7337
	v_max3_f32 v22, |v58|, |v60|, v22                          // 000000009B98: D1D30316 045A793A
	v_max3_f32 v23, |v59|, |v61|, v23                          // 000000009BA0: D1D30317 045E7B3B
	v_mov_b32_e32 v42, 0x42fe0000                              // 000000009BA8: 7E5402FF 42FE0000
	v_rcp_f32_e32 v22, v22                                     // 000000009BB0: 7E2C4516
	v_rcp_f32_e32 v23, v23                                     // 000000009BB4: 7E2E4517
	s_nop 1                                                    // 000000009BB8: BF800001
	v_mul_f32_e32 v22, v42, v22                                // 000000009BBC: 0A2C2D2A
	v_mul_f32_e32 v23, v42, v23                                // 000000009BC0: 0A2E2F2A
	v_rcp_f32_e32 v26, v22                                     // 000000009BC4: 7E344516
	v_rcp_f32_e32 v27, v23                                     // 000000009BC8: 7E364517
	v_mov_b32_e32 v42, v22                                     // 000000009BCC: 7E540316
	v_mov_b32_e32 v43, v22                                     // 000000009BD0: 7E560316
	v_mov_b32_e32 v44, v23                                     // 000000009BD4: 7E580317
	v_mov_b32_e32 v45, v23                                     // 000000009BD8: 7E5A0317
	v_pk_mul_f32 v[208:209], v[42:43], v[208:209]              // 000000009BDC: D3B140D0 1803A12A
	v_pk_mul_f32 v[210:211], v[42:43], v[210:211]              // 000000009BE4: D3B140D2 1803A52A
	v_cvt_i32_f32_e32 v208, v208                               // 000000009BEC: 7FA011D0
	v_cvt_i32_f32_e32 v209, v209                               // 000000009BF0: 7FA211D1
	v_cvt_i32_f32_e32 v210, v210                               // 000000009BF4: 7FA411D2
	v_cvt_i32_f32_e32 v211, v211                               // 000000009BF8: 7FA611D3
	v_perm_b32 v208, v209, v208, s53                           // 000000009BFC: D1ED00D0 00D7A1D1
	v_perm_b32 v208, v210, v208, s54                           // 000000009C04: D1ED00D0 00DBA1D2
	v_perm_b32 v208, v211, v208, s55                           // 000000009C0C: D1ED00D0 00DFA1D3
	v_pk_mul_f32 v[212:213], v[44:45], v[212:213]              // 000000009C14: D3B140D4 1803A92C
	v_pk_mul_f32 v[214:215], v[44:45], v[214:215]              // 000000009C1C: D3B140D6 1803AD2C
	v_cvt_i32_f32_e32 v212, v212                               // 000000009C24: 7FA811D4
	v_cvt_i32_f32_e32 v213, v213                               // 000000009C28: 7FAA11D5
	v_cvt_i32_f32_e32 v214, v214                               // 000000009C2C: 7FAC11D6
	v_cvt_i32_f32_e32 v215, v215                               // 000000009C30: 7FAE11D7
	v_perm_b32 v209, v213, v212, s53                           // 000000009C34: D1ED00D1 00D7A9D5
	v_perm_b32 v209, v214, v209, s54                           // 000000009C3C: D1ED00D1 00DBA3D6
	v_perm_b32 v209, v215, v209, s55                           // 000000009C44: D1ED00D1 00DFA3D7
	v_pk_mul_f32 v[216:217], v[42:43], v[216:217]              // 000000009C4C: D3B140D8 1803B12A
	v_pk_mul_f32 v[218:219], v[42:43], v[218:219]              // 000000009C54: D3B140DA 1803B52A
	v_cvt_i32_f32_e32 v216, v216                               // 000000009C5C: 7FB011D8
	v_cvt_i32_f32_e32 v217, v217                               // 000000009C60: 7FB211D9
	v_cvt_i32_f32_e32 v218, v218                               // 000000009C64: 7FB411DA
	v_cvt_i32_f32_e32 v219, v219                               // 000000009C68: 7FB611DB
	v_perm_b32 v210, v217, v216, s53                           // 000000009C6C: D1ED00D2 00D7B1D9
	v_perm_b32 v210, v218, v210, s54                           // 000000009C74: D1ED00D2 00DBA5DA
	v_perm_b32 v210, v219, v210, s55                           // 000000009C7C: D1ED00D2 00DFA5DB
	v_pk_mul_f32 v[220:221], v[44:45], v[220:221]              // 000000009C84: D3B140DC 1803B92C
	v_pk_mul_f32 v[222:223], v[44:45], v[222:223]              // 000000009C8C: D3B140DE 1803BD2C
	v_cvt_i32_f32_e32 v220, v220                               // 000000009C94: 7FB811DC
	v_cvt_i32_f32_e32 v221, v221                               // 000000009C98: 7FBA11DD
	v_cvt_i32_f32_e32 v222, v222                               // 000000009C9C: 7FBC11DE
	v_cvt_i32_f32_e32 v223, v223                               // 000000009CA0: 7FBE11DF
	v_perm_b32 v211, v221, v220, s53                           // 000000009CA4: D1ED00D3 00D7B9DD
	v_perm_b32 v211, v222, v211, s54                           // 000000009CAC: D1ED00D3 00DBA7DE
	v_perm_b32 v211, v223, v211, s55                           // 000000009CB4: D1ED00D3 00DFA7DF
	v_pk_mul_f32 v[224:225], v[42:43], v[224:225]              // 000000009CBC: D3B140E0 1803C12A
	v_pk_mul_f32 v[226:227], v[42:43], v[226:227]              // 000000009CC4: D3B140E2 1803C52A
	v_cvt_i32_f32_e32 v224, v224                               // 000000009CCC: 7FC011E0
	v_cvt_i32_f32_e32 v225, v225                               // 000000009CD0: 7FC211E1
	v_cvt_i32_f32_e32 v226, v226                               // 000000009CD4: 7FC411E2
	v_cvt_i32_f32_e32 v227, v227                               // 000000009CD8: 7FC611E3
	v_perm_b32 v212, v225, v224, s53                           // 000000009CDC: D1ED00D4 00D7C1E1
	v_perm_b32 v212, v226, v212, s54                           // 000000009CE4: D1ED00D4 00DBA9E2
	v_perm_b32 v212, v227, v212, s55                           // 000000009CEC: D1ED00D4 00DFA9E3
	v_pk_mul_f32 v[228:229], v[44:45], v[228:229]              // 000000009CF4: D3B140E4 1803C92C
	v_pk_mul_f32 v[230:231], v[44:45], v[230:231]              // 000000009CFC: D3B140E6 1803CD2C
	v_cvt_i32_f32_e32 v228, v228                               // 000000009D04: 7FC811E4
	v_cvt_i32_f32_e32 v229, v229                               // 000000009D08: 7FCA11E5
	v_cvt_i32_f32_e32 v230, v230                               // 000000009D0C: 7FCC11E6
	v_cvt_i32_f32_e32 v231, v231                               // 000000009D10: 7FCE11E7
	v_perm_b32 v213, v229, v228, s53                           // 000000009D14: D1ED00D5 00D7C9E5
	v_perm_b32 v213, v230, v213, s54                           // 000000009D1C: D1ED00D5 00DBABE6
	v_perm_b32 v213, v231, v213, s55                           // 000000009D24: D1ED00D5 00DFABE7
	v_pk_mul_f32 v[232:233], v[42:43], v[232:233]              // 000000009D2C: D3B140E8 1803D12A
	v_pk_mul_f32 v[234:235], v[42:43], v[234:235]              // 000000009D34: D3B140EA 1803D52A
	v_cvt_i32_f32_e32 v232, v232                               // 000000009D3C: 7FD011E8
	v_cvt_i32_f32_e32 v233, v233                               // 000000009D40: 7FD211E9
	v_cvt_i32_f32_e32 v234, v234                               // 000000009D44: 7FD411EA
	v_cvt_i32_f32_e32 v235, v235                               // 000000009D48: 7FD611EB
	v_perm_b32 v214, v233, v232, s53                           // 000000009D4C: D1ED00D6 00D7D1E9
	v_perm_b32 v214, v234, v214, s54                           // 000000009D54: D1ED00D6 00DBADEA
	v_perm_b32 v214, v235, v214, s55                           // 000000009D5C: D1ED00D6 00DFADEB
	v_pk_mul_f32 v[236:237], v[44:45], v[236:237]              // 000000009D64: D3B140EC 1803D92C
	v_pk_mul_f32 v[238:239], v[44:45], v[238:239]              // 000000009D6C: D3B140EE 1803DD2C
	v_cvt_i32_f32_e32 v236, v236                               // 000000009D74: 7FD811EC
	v_cvt_i32_f32_e32 v237, v237                               // 000000009D78: 7FDA11ED
	v_cvt_i32_f32_e32 v238, v238                               // 000000009D7C: 7FDC11EE
	v_cvt_i32_f32_e32 v239, v239                               // 000000009D80: 7FDE11EF
	v_perm_b32 v215, v237, v236, s53                           // 000000009D84: D1ED00D7 00D7D9ED
	v_perm_b32 v215, v238, v215, s54                           // 000000009D8C: D1ED00D7 00DBAFEE
	v_perm_b32 v215, v239, v215, s55                           // 000000009D94: D1ED00D7 00DFAFEF
	v_mfma_i32_16x16x32_i8 v[244:247], a[140:141], v[204:205], v[244:247]// 000000009D9C: D3D700F4 0FD3998C
	v_mfma_i32_16x16x32_i8 v[244:247], a[142:143], v[206:207], v[244:247]// 000000009DA4: D3D700F4 0FD39D8E
	ds_write_b32 v12, v208 offset:2048                         // 000000009DAC: D81A0800 0000D00C
	ds_write_b32 v12, v209 offset:6144                         // 000000009DB4: D81A1800 0000D10C
	v_cvt_f32_i32_e32 v240, v240                               // 000000009DBC: 7FE00BF0
	v_cvt_f32_i32_e32 v241, v241                               // 000000009DC0: 7FE20BF1
	v_cvt_f32_i32_e32 v242, v242                               // 000000009DC4: 7FE40BF2
	v_cvt_f32_i32_e32 v243, v243                               // 000000009DC8: 7FE60BF3
	v_pk_fma_f32 v[80:81], v[240:241], v[248:249], v[80:81]    // 000000009DCC: D3B04050 1D43F1F0
	v_pk_fma_f32 v[82:83], v[242:243], v[248:249], v[82:83]    // 000000009DD4: D3B04052 1D4BF1F2
	s_waitcnt vmcnt(20)                                        // 000000009DDC: BF8C4F74
	v_mfma_i32_16x16x32_i8 v[240:243], a[144:145], v[176:177], 0// 000000009DE0: D3D700F0 0A036190
	buffer_load_dwordx4 a[48:51], v39, s[24:27], 0 offen       // 000000009DE8: E05C1000 80863027
	v_mfma_i32_16x16x32_i8 v[240:243], a[146:147], v[178:179], v[240:243]// 000000009DF0: D3D700F0 0FC36592
	ds_write_b32 v12, v210 offset:3072                         // 000000009DF8: D81A0C00 0000D20C
	ds_write_b32 v12, v211 offset:7168                         // 000000009E00: D81A1C00 0000D30C
	v_mfma_i32_16x16x32_i8 v[240:243], a[148:149], v[180:181], v[240:243]// 000000009E08: D3D700F0 0FC36994
	v_mfma_i32_16x16x32_i8 v[240:243], a[150:151], v[182:183], v[240:243]// 000000009E10: D3D700F0 0FC36D96
	ds_write_b32 v12, v212 offset:4096                         // 000000009E18: D81A1000 0000D40C
	ds_write_b32 v12, v213 offset:8192                         // 000000009E20: D81A2000 0000D50C
	v_mfma_i32_16x16x32_i8 v[240:243], a[152:153], v[184:185], v[240:243]// 000000009E28: D3D700F0 0FC37198
	buffer_load_dwordx4 a[52:55], v39, s[24:27], 0 offen offset:1024// 000000009E30: E05C1400 80863427
	v_mfma_i32_16x16x32_i8 v[240:243], a[154:155], v[186:187], v[240:243]// 000000009E38: D3D700F0 0FC3759A
	ds_write_b32 v12, v214 offset:5120                         // 000000009E40: D81A1400 0000D60C
	ds_write_b32 v12, v215 offset:9216                         // 000000009E48: D81A2400 0000D70C
	v_mfma_i32_16x16x32_i8 v[240:243], a[156:157], v[188:189], v[240:243]// 000000009E50: D3D700F0 0FC3799C
	v_mfma_i32_16x16x32_i8 v[240:243], a[158:159], v[190:191], v[240:243]// 000000009E58: D3D700F0 0FC37D9E
	v_cvt_f32_i32_e32 v244, v244                               // 000000009E60: 7FE80BF4
	v_cvt_f32_i32_e32 v245, v245                               // 000000009E64: 7FEA0BF5
	v_cvt_f32_i32_e32 v246, v246                               // 000000009E68: 7FEC0BF6
	v_cvt_f32_i32_e32 v247, v247                               // 000000009E6C: 7FEE0BF7
	v_pk_fma_f32 v[84:85], v[244:245], v[250:251], v[84:85]    // 000000009E70: D3B04054 1D53F5F4
	v_pk_fma_f32 v[86:87], v[246:247], v[250:251], v[86:87]    // 000000009E78: D3B04056 1D5BF5F6
	v_mfma_i32_16x16x32_i8 v[244:247], a[144:145], v[192:193], 0// 000000009E80: D3D700F4 0A038190
	buffer_load_dwordx4 a[56:59], v39, s[24:27], 0 offen offset:2048// 000000009E88: E05C1800 80863827
	v_mfma_i32_16x16x32_i8 v[244:247], a[146:147], v[194:195], v[244:247]// 000000009E90: D3D700F4 0FD38592
	v_mfma_i32_16x16x32_i8 v[244:247], a[148:149], v[196:197], v[244:247]// 000000009E98: D3D700F4 0FD38994
	v_mfma_i32_16x16x32_i8 v[244:247], a[150:151], v[198:199], v[244:247]// 000000009EA0: D3D700F4 0FD38D96
	s_waitcnt lgkmcnt(0)                                       // 000000009EA8: BF8CC07F
	s_barrier                                                  // 000000009EAC: BF8A0000
	v_mfma_i32_16x16x32_i8 v[244:247], a[152:153], v[200:201], v[244:247]// 000000009EB0: D3D700F4 0FD39198
	buffer_load_dwordx4 a[60:63], v39, s[24:27], 0 offen offset:3072// 000000009EB8: E05C1C00 80863C27
	v_mfma_i32_16x16x32_i8 v[244:247], a[154:155], v[202:203], v[244:247]// 000000009EC0: D3D700F4 0FD3959A
	ds_read_b64 v[208:209], v13 offset:2048                    // 000000009EC8: D8EC0800 D000000D
	ds_read_b64 v[210:211], v13 offset:2176                    // 000000009ED0: D8EC0880 D200000D
	v_mfma_i32_16x16x32_i8 v[244:247], a[156:157], v[204:205], v[244:247]// 000000009ED8: D3D700F4 0FD3999C
	v_mfma_i32_16x16x32_i8 v[244:247], a[158:159], v[206:207], v[244:247]// 000000009EE0: D3D700F4 0FD39D9E
	ds_read_b64 v[212:213], v13 offset:3072                    // 000000009EE8: D8EC0C00 D400000D
	ds_read_b64 v[214:215], v13 offset:3200                    // 000000009EF0: D8EC0C80 D600000D
	v_cvt_f32_i32_e32 v240, v240                               // 000000009EF8: 7FE00BF0
	v_cvt_f32_i32_e32 v241, v241                               // 000000009EFC: 7FE20BF1
	v_cvt_f32_i32_e32 v242, v242                               // 000000009F00: 7FE40BF2
	v_cvt_f32_i32_e32 v243, v243                               // 000000009F04: 7FE60BF3
	v_pk_fma_f32 v[88:89], v[240:241], v[248:249], v[88:89]    // 000000009F08: D3B04058 1D63F1F0
	v_pk_fma_f32 v[90:91], v[242:243], v[248:249], v[90:91]    // 000000009F10: D3B0405A 1D6BF1F2
	s_waitcnt vmcnt(20)                                        // 000000009F18: BF8C4F74
	v_mfma_i32_16x16x32_i8 v[240:243], a[160:161], v[176:177], 0// 000000009F1C: D3D700F0 0A0361A0
	buffer_load_dwordx4 a[64:67], v40, s[24:27], 0 offen       // 000000009F24: E05C1000 80864028
	v_mfma_i32_16x16x32_i8 v[240:243], a[162:163], v[178:179], v[240:243]// 000000009F2C: D3D700F0 0FC365A2
	ds_read_b64 v[216:217], v13 offset:4096                    // 000000009F34: D8EC1000 D800000D
	ds_read_b64 v[218:219], v13 offset:4224                    // 000000009F3C: D8EC1080 DA00000D
	v_mfma_i32_16x16x32_i8 v[240:243], a[164:165], v[180:181], v[240:243]// 000000009F44: D3D700F0 0FC369A4
	v_mfma_i32_16x16x32_i8 v[240:243], a[166:167], v[182:183], v[240:243]// 000000009F4C: D3D700F0 0FC36DA6
	ds_read_b64 v[220:221], v13 offset:5120                    // 000000009F54: D8EC1400 DC00000D
	ds_read_b64 v[222:223], v13 offset:5248                    // 000000009F5C: D8EC1480 DE00000D
	v_mfma_i32_16x16x32_i8 v[240:243], a[168:169], v[184:185], v[240:243]// 000000009F64: D3D700F0 0FC371A8
	buffer_load_dwordx4 a[68:71], v40, s[24:27], 0 offen offset:1024// 000000009F6C: E05C1400 80864428
	v_mfma_i32_16x16x32_i8 v[240:243], a[170:171], v[186:187], v[240:243]// 000000009F74: D3D700F0 0FC375AA
	ds_read_b64 v[224:225], v13 offset:6144                    // 000000009F7C: D8EC1800 E000000D
	ds_read_b64 v[226:227], v13 offset:6272                    // 000000009F84: D8EC1880 E200000D
	v_mfma_i32_16x16x32_i8 v[240:243], a[172:173], v[188:189], v[240:243]// 000000009F8C: D3D700F0 0FC379AC
	v_mfma_i32_16x16x32_i8 v[240:243], a[174:175], v[190:191], v[240:243]// 000000009F94: D3D700F0 0FC37DAE
	ds_read_b64 v[228:229], v13 offset:7168                    // 000000009F9C: D8EC1C00 E400000D
	ds_read_b64 v[230:231], v13 offset:7296                    // 000000009FA4: D8EC1C80 E600000D
	v_cvt_f32_i32_e32 v244, v244                               // 000000009FAC: 7FE80BF4
	v_cvt_f32_i32_e32 v245, v245                               // 000000009FB0: 7FEA0BF5
	v_cvt_f32_i32_e32 v246, v246                               // 000000009FB4: 7FEC0BF6
	v_cvt_f32_i32_e32 v247, v247                               // 000000009FB8: 7FEE0BF7
	v_pk_fma_f32 v[92:93], v[244:245], v[250:251], v[92:93]    // 000000009FBC: D3B0405C 1D73F5F4
	v_pk_fma_f32 v[94:95], v[246:247], v[250:251], v[94:95]    // 000000009FC4: D3B0405E 1D7BF5F6
	v_mfma_i32_16x16x32_i8 v[244:247], a[160:161], v[192:193], 0// 000000009FCC: D3D700F4 0A0381A0
	buffer_load_dwordx4 a[72:75], v40, s[24:27], 0 offen offset:2048// 000000009FD4: E05C1800 80864828
	v_mfma_i32_16x16x32_i8 v[244:247], a[162:163], v[194:195], v[244:247]// 000000009FDC: D3D700F4 0FD385A2
	ds_read_b64 v[232:233], v13 offset:8192                    // 000000009FE4: D8EC2000 E800000D
	ds_read_b64 v[234:235], v13 offset:8320                    // 000000009FEC: D8EC2080 EA00000D
	v_mfma_i32_16x16x32_i8 v[244:247], a[164:165], v[196:197], v[244:247]// 000000009FF4: D3D700F4 0FD389A4
	v_mfma_i32_16x16x32_i8 v[244:247], a[166:167], v[198:199], v[244:247]// 000000009FFC: D3D700F4 0FD38DA6
	ds_read_b64 v[236:237], v13 offset:9216                    // 00000000A004: D8EC2400 EC00000D
	ds_read_b64 v[238:239], v13 offset:9344                    // 00000000A00C: D8EC2480 EE00000D
	v_mfma_i32_16x16x32_i8 v[244:247], a[168:169], v[200:201], v[244:247]// 00000000A014: D3D700F4 0FD391A8
	buffer_load_dwordx4 a[76:79], v40, s[24:27], 0 offen offset:3072// 00000000A01C: E05C1C00 80864C28
	v_mfma_i32_16x16x32_i8 v[244:247], a[170:171], v[202:203], v[244:247]// 00000000A024: D3D700F4 0FD395AA
	v_mfma_i32_16x16x32_i8 v[244:247], a[172:173], v[204:205], v[244:247]// 00000000A02C: D3D700F4 0FD399AC
	v_mfma_i32_16x16x32_i8 v[244:247], a[174:175], v[206:207], v[244:247]// 00000000A034: D3D700F4 0FD39DAE
	v_cvt_f32_i32_e32 v240, v240                               // 00000000A03C: 7FE00BF0
	v_cvt_f32_i32_e32 v241, v241                               // 00000000A040: 7FE20BF1
	v_cvt_f32_i32_e32 v242, v242                               // 00000000A044: 7FE40BF2
	v_cvt_f32_i32_e32 v243, v243                               // 00000000A048: 7FE60BF3
	v_pk_fma_f32 v[96:97], v[240:241], v[248:249], v[96:97]    // 00000000A04C: D3B04060 1D83F1F0
	v_pk_fma_f32 v[98:99], v[242:243], v[248:249], v[98:99]    // 00000000A054: D3B04062 1D8BF1F2
	s_waitcnt vmcnt(20)                                        // 00000000A05C: BF8C4F74
	v_mfma_i32_16x16x32_i8 v[240:243], a[176:177], v[176:177], 0// 00000000A060: D3D700F0 0A0361B0
	buffer_load_dwordx4 a[80:83], v41, s[24:27], 0 offen       // 00000000A068: E05C1000 80865029
	v_mfma_i32_16x16x32_i8 v[240:243], a[178:179], v[178:179], v[240:243]// 00000000A070: D3D700F0 0FC365B2
	v_mfma_i32_16x16x32_i8 v[240:243], a[180:181], v[180:181], v[240:243]// 00000000A078: D3D700F0 0FC369B4
	v_mfma_i32_16x16x32_i8 v[240:243], a[182:183], v[182:183], v[240:243]// 00000000A080: D3D700F0 0FC36DB6
	v_mfma_i32_16x16x32_i8 v[240:243], a[184:185], v[184:185], v[240:243]// 00000000A088: D3D700F0 0FC371B8
	buffer_load_dwordx4 a[84:87], v41, s[24:27], 0 offen offset:1024// 00000000A090: E05C1400 80865429
	v_mfma_i32_16x16x32_i8 v[240:243], a[186:187], v[186:187], v[240:243]// 00000000A098: D3D700F0 0FC375BA
	v_mfma_i32_16x16x32_i8 v[240:243], a[188:189], v[188:189], v[240:243]// 00000000A0A0: D3D700F0 0FC379BC
	v_mfma_i32_16x16x32_i8 v[240:243], a[190:191], v[190:191], v[240:243]// 00000000A0A8: D3D700F0 0FC37DBE
	v_cvt_f32_i32_e32 v244, v244                               // 00000000A0B0: 7FE80BF4
	v_cvt_f32_i32_e32 v245, v245                               // 00000000A0B4: 7FEA0BF5
	v_cvt_f32_i32_e32 v246, v246                               // 00000000A0B8: 7FEC0BF6
	v_cvt_f32_i32_e32 v247, v247                               // 00000000A0BC: 7FEE0BF7
	v_pk_fma_f32 v[100:101], v[244:245], v[250:251], v[100:101]// 00000000A0C0: D3B04064 1D93F5F4
	v_pk_fma_f32 v[102:103], v[246:247], v[250:251], v[102:103]// 00000000A0C8: D3B04066 1D9BF5F6
	v_mfma_i32_16x16x32_i8 v[244:247], a[176:177], v[192:193], 0// 00000000A0D0: D3D700F4 0A0381B0
	buffer_load_dwordx4 a[88:91], v41, s[24:27], 0 offen offset:2048// 00000000A0D8: E05C1800 80865829
	v_mfma_i32_16x16x32_i8 v[244:247], a[178:179], v[194:195], v[244:247]// 00000000A0E0: D3D700F4 0FD385B2
	v_mfma_i32_16x16x32_i8 v[244:247], a[180:181], v[196:197], v[244:247]// 00000000A0E8: D3D700F4 0FD389B4
	v_mfma_i32_16x16x32_i8 v[244:247], a[182:183], v[198:199], v[244:247]// 00000000A0F0: D3D700F4 0FD38DB6
	v_mfma_i32_16x16x32_i8 v[244:247], a[184:185], v[200:201], v[244:247]// 00000000A0F8: D3D700F4 0FD391B8
	buffer_load_dwordx4 a[92:95], v41, s[24:27], 0 offen offset:3072// 00000000A100: E05C1C00 80865C29
	v_mfma_i32_16x16x32_i8 v[244:247], a[186:187], v[202:203], v[244:247]// 00000000A108: D3D700F4 0FD395BA
	v_mfma_i32_16x16x32_i8 v[244:247], a[188:189], v[204:205], v[244:247]// 00000000A110: D3D700F4 0FD399BC
	v_mfma_i32_16x16x32_i8 v[244:247], a[190:191], v[206:207], v[244:247]// 00000000A118: D3D700F4 0FD39DBE
	v_cvt_f32_i32_e32 v240, v240                               // 00000000A120: 7FE00BF0
	v_cvt_f32_i32_e32 v241, v241                               // 00000000A124: 7FE20BF1
	v_cvt_f32_i32_e32 v242, v242                               // 00000000A128: 7FE40BF2
	v_cvt_f32_i32_e32 v243, v243                               // 00000000A12C: 7FE60BF3
	v_pk_fma_f32 v[104:105], v[240:241], v[248:249], v[104:105]// 00000000A130: D3B04068 1DA3F1F0
	v_pk_fma_f32 v[106:107], v[242:243], v[248:249], v[106:107]// 00000000A138: D3B0406A 1DABF1F2
	v_cvt_f32_i32_e32 v244, v244                               // 00000000A140: 7FE80BF4
	v_cvt_f32_i32_e32 v245, v245                               // 00000000A144: 7FEA0BF5
	v_cvt_f32_i32_e32 v246, v246                               // 00000000A148: 7FEC0BF6
	v_cvt_f32_i32_e32 v247, v247                               // 00000000A14C: 7FEE0BF7
	v_pk_fma_f32 v[108:109], v[244:245], v[250:251], v[108:109]// 00000000A150: D3B0406C 1DB3F5F4
	v_pk_fma_f32 v[110:111], v[246:247], v[250:251], v[110:111]// 00000000A158: D3B0406E 1DBBF5F6
	s_add_u32 s60, 0x200, s80                                  // 00000000A160: 803C50FF 00000200
	s_cmp_lt_u32 s60, s81                                      // 00000000A168: BF0A513C
	s_cselect_b32 s57, s57, 0                                  // 00000000A16C: 85398039
	s_cselect_b32 s91, s91, 0                                  // 00000000A170: 855B805B
	s_add_u32 s60, 0x200, s80                                  // 00000000A174: 803C50FF 00000200
	s_cmp_lt_u32 s60, s81                                      // 00000000A17C: BF0A513C
	s_cselect_b32 s58, s58, 0                                  // 00000000A180: 853A803A
	s_add_u32 s20, s57, s20                                    // 00000000A184: 80141439
	s_addc_u32 s21, 0, s21                                     // 00000000A188: 82151580
	s_add_u32 s28, s91, s28                                    // 00000000A18C: 801C1C5B
	s_addc_u32 s29, 0, s29                                     // 00000000A190: 821D1D80
	s_add_u32 s24, s58, s24                                    // 00000000A194: 8018183A
	s_addc_u32 s25, 0, s25                                     // 00000000A198: 82191980
	s_add_u32 s92, s90, s92                                    // 00000000A19C: 805C5C5A
	s_addc_u32 s93, 0, s93                                     // 00000000A1A0: 825D5D80
	s_addk_i32 s80, 0x100                                      // 00000000A1A4: B7500100
	s_cmp_lt_i32 s80, s81                                      // 00000000A1A8: BF045150
	s_cbranch_scc0 label_2181                                  // 00000000A1AC: BF840495
	v_mov_b32_e32 v248, v26                                    // 00000000A1B0: 7FF0031A
	v_mov_b32_e32 v250, v27                                    // 00000000A1B4: 7FF4031B
	v_mov_b32_e32 v249, v248                                   // 00000000A1B8: 7FF203F8
	v_mov_b32_e32 v251, v250                                   // 00000000A1BC: 7FF603FA
	s_waitcnt vmcnt(16) lgkmcnt(0)                             // 00000000A1C0: BF8C4070
	s_barrier                                                  // 00000000A1C4: BF8A0000
	v_mfma_i32_16x16x32_i8 v[240:243], a[0:1], v[208:209], 0   // 00000000A1C8: D3D700F0 0A03A100
	buffer_load_dwordx4 a[96:99], v36, s[92:95], 0 offen       // 00000000A1D0: E05C1000 80976024
	v_mfma_i32_16x16x32_i8 v[240:243], a[2:3], v[210:211], v[240:243]// 00000000A1D8: D3D700F0 0FC3A502
	v_mfma_i32_16x16x32_i8 v[240:243], a[4:5], v[212:213], v[240:243]// 00000000A1E0: D3D700F0 0FC3A904
	buffer_load_dword v28, s[20:23], 0 offen lds               // 00000000A1E8: E0511000 8005001C
	buffer_load_dword v28, s[20:23], 0 offen offset:256 lds    // 00000000A1F0: E0511100 8005001C
	s_add_u32 m0, 0x820, s50                                   // 00000000A1F8: 807C32FF 00000820
	v_mfma_i32_16x16x32_i8 v[240:243], a[6:7], v[214:215], v[240:243]// 00000000A200: D3D700F0 0FC3AD06
	v_mfma_i32_16x16x32_i8 v[240:243], a[8:9], v[216:217], v[240:243]// 00000000A208: D3D700F0 0FC3B108
	buffer_load_dwordx4 a[100:103], v36, s[92:95], 0 offen offset:1024// 00000000A210: E05C1400 80976424
	v_mfma_i32_16x16x32_i8 v[240:243], a[10:11], v[218:219], v[240:243]// 00000000A218: D3D700F0 0FC3B50A
	v_mfma_i32_16x16x32_i8 v[240:243], a[12:13], v[220:221], v[240:243]// 00000000A220: D3D700F0 0FC3B90C
	buffer_load_dword v29, s[20:23], 0 offen lds               // 00000000A228: E0511000 8005001D
	buffer_load_dword v29, s[20:23], 0 offen offset:256 lds    // 00000000A230: E0511100 8005001D
	s_add_u32 m0, 0x1040, s50                                  // 00000000A238: 807C32FF 00001040
	v_mfma_i32_16x16x32_i8 v[240:243], a[14:15], v[222:223], v[240:243]// 00000000A240: D3D700F0 0FC3BD0E
	v_mfma_i32_16x16x32_i8 v[244:247], a[0:1], v[224:225], 0   // 00000000A248: D3D700F4 0A03C100
	buffer_load_dwordx4 a[104:107], v36, s[92:95], 0 offen offset:2048// 00000000A250: E05C1800 80976824
	v_mfma_i32_16x16x32_i8 v[244:247], a[2:3], v[226:227], v[244:247]// 00000000A258: D3D700F4 0FD3C502
	v_mfma_i32_16x16x32_i8 v[244:247], a[4:5], v[228:229], v[244:247]// 00000000A260: D3D700F4 0FD3C904
	buffer_load_dword v30, s[20:23], 0 offen lds               // 00000000A268: E0511000 8005001E
	buffer_load_dword v30, s[20:23], 0 offen offset:256 lds    // 00000000A270: E0511100 8005001E
	s_add_u32 m0, 0x1860, s50                                  // 00000000A278: 807C32FF 00001860
	v_mfma_i32_16x16x32_i8 v[244:247], a[6:7], v[230:231], v[244:247]// 00000000A280: D3D700F4 0FD3CD06
	v_mfma_i32_16x16x32_i8 v[244:247], a[8:9], v[232:233], v[244:247]// 00000000A288: D3D700F4 0FD3D108
	buffer_load_dwordx4 a[108:111], v36, s[92:95], 0 offen offset:3072// 00000000A290: E05C1C00 80976C24
	v_mfma_i32_16x16x32_i8 v[244:247], a[10:11], v[234:235], v[244:247]// 00000000A298: D3D700F4 0FD3D50A
	v_mfma_i32_16x16x32_i8 v[244:247], a[12:13], v[236:237], v[244:247]// 00000000A2A0: D3D700F4 0FD3D90C
	buffer_load_dword v31, s[20:23], 0 offen lds               // 00000000A2A8: E0511000 8005001F
	buffer_load_dword v31, s[20:23], 0 offen offset:256 lds    // 00000000A2B0: E0511100 8005001F
	s_add_u32 m0, 0x2080, s50                                  // 00000000A2B8: 807C32FF 00002080
	v_mfma_i32_16x16x32_i8 v[244:247], a[14:15], v[238:239], v[244:247]// 00000000A2C0: D3D700F4 0FD3DD0E
	v_cvt_f32_i32_e32 v240, v240                               // 00000000A2C8: 7FE00BF0
	v_cvt_f32_i32_e32 v241, v241                               // 00000000A2CC: 7FE20BF1
	v_cvt_f32_i32_e32 v242, v242                               // 00000000A2D0: 7FE40BF2
	v_cvt_f32_i32_e32 v243, v243                               // 00000000A2D4: 7FE60BF3
	v_pk_fma_f32 v[128:129], v[240:241], v[248:249], v[128:129]// 00000000A2D8: D3B04080 1E03F1F0
	v_pk_fma_f32 v[130:131], v[242:243], v[248:249], v[130:131]// 00000000A2E0: D3B04082 1E0BF1F2
	v_mfma_i32_16x16x32_i8 v[240:243], a[16:17], v[208:209], 0 // 00000000A2E8: D3D700F0 0A03A110
	buffer_load_dwordx4 a[112:115], v37, s[92:95], 0 offen     // 00000000A2F0: E05C1000 80977025
	v_mfma_i32_16x16x32_i8 v[240:243], a[18:19], v[210:211], v[240:243]// 00000000A2F8: D3D700F0 0FC3A512
	v_mfma_i32_16x16x32_i8 v[240:243], a[20:21], v[212:213], v[240:243]// 00000000A300: D3D700F0 0FC3A914
	buffer_load_dword v32, s[20:23], 0 offen lds               // 00000000A308: E0511000 80050020
	buffer_load_dword v32, s[20:23], 0 offen offset:256 lds    // 00000000A310: E0511100 80050020
	s_add_u32 m0, 0x28a0, s50                                  // 00000000A318: 807C32FF 000028A0
	v_mfma_i32_16x16x32_i8 v[240:243], a[22:23], v[214:215], v[240:243]// 00000000A320: D3D700F0 0FC3AD16
	v_mfma_i32_16x16x32_i8 v[240:243], a[24:25], v[216:217], v[240:243]// 00000000A328: D3D700F0 0FC3B118
	buffer_load_dwordx4 a[116:119], v37, s[92:95], 0 offen offset:1024// 00000000A330: E05C1400 80977425
	v_mfma_i32_16x16x32_i8 v[240:243], a[26:27], v[218:219], v[240:243]// 00000000A338: D3D700F0 0FC3B51A
	v_mfma_i32_16x16x32_i8 v[240:243], a[28:29], v[220:221], v[240:243]// 00000000A340: D3D700F0 0FC3B91C
	buffer_load_dword v33, s[20:23], 0 offen lds               // 00000000A348: E0511000 80050021
	buffer_load_dword v33, s[20:23], 0 offen offset:256 lds    // 00000000A350: E0511100 80050021
	s_add_u32 m0, 0x30c0, s50                                  // 00000000A358: 807C32FF 000030C0
	v_mfma_i32_16x16x32_i8 v[240:243], a[30:31], v[222:223], v[240:243]// 00000000A360: D3D700F0 0FC3BD1E
	v_cvt_f32_i32_e32 v244, v244                               // 00000000A368: 7FE80BF4
	v_cvt_f32_i32_e32 v245, v245                               // 00000000A36C: 7FEA0BF5
	v_cvt_f32_i32_e32 v246, v246                               // 00000000A370: 7FEC0BF6
	v_cvt_f32_i32_e32 v247, v247                               // 00000000A374: 7FEE0BF7
	v_pk_fma_f32 v[132:133], v[244:245], v[250:251], v[132:133]// 00000000A378: D3B04084 1E13F5F4
	v_pk_fma_f32 v[134:135], v[246:247], v[250:251], v[134:135]// 00000000A380: D3B04086 1E1BF5F6
	v_mfma_i32_16x16x32_i8 v[244:247], a[16:17], v[224:225], 0 // 00000000A388: D3D700F4 0A03C110
	buffer_load_dwordx4 a[120:123], v37, s[92:95], 0 offen offset:2048// 00000000A390: E05C1800 80977825
	v_mfma_i32_16x16x32_i8 v[244:247], a[18:19], v[226:227], v[244:247]// 00000000A398: D3D700F4 0FD3C512
	v_mfma_i32_16x16x32_i8 v[244:247], a[20:21], v[228:229], v[244:247]// 00000000A3A0: D3D700F4 0FD3C914
	buffer_load_dword v34, s[20:23], 0 offen lds               // 00000000A3A8: E0511000 80050022
	buffer_load_dword v34, s[20:23], 0 offen offset:256 lds    // 00000000A3B0: E0511100 80050022
	s_add_u32 m0, 0x38e0, s50                                  // 00000000A3B8: 807C32FF 000038E0
	v_mfma_i32_16x16x32_i8 v[244:247], a[22:23], v[230:231], v[244:247]// 00000000A3C0: D3D700F4 0FD3CD16
	v_mfma_i32_16x16x32_i8 v[244:247], a[24:25], v[232:233], v[244:247]// 00000000A3C8: D3D700F4 0FD3D118
	buffer_load_dwordx4 a[124:127], v37, s[92:95], 0 offen offset:3072// 00000000A3D0: E05C1C00 80977C25
	v_mfma_i32_16x16x32_i8 v[244:247], a[26:27], v[234:235], v[244:247]// 00000000A3D8: D3D700F4 0FD3D51A
	v_mfma_i32_16x16x32_i8 v[244:247], a[28:29], v[236:237], v[244:247]// 00000000A3E0: D3D700F4 0FD3D91C
	buffer_load_dword v35, s[20:23], 0 offen lds               // 00000000A3E8: E0511000 80050023
	buffer_load_dword v35, s[20:23], 0 offen offset:256 lds    // 00000000A3F0: E0511100 80050023
	s_add_u32 m0, 0, s51                                       // 00000000A3F8: 807C3380
	v_mfma_i32_16x16x32_i8 v[244:247], a[30:31], v[238:239], v[244:247]// 00000000A3FC: D3D700F4 0FD3DD1E
	buffer_load_dword v14, v6, s[28:31], 0 offen               // 00000000A404: E0501000 80070E06
	v_cvt_f32_i32_e32 v240, v240                               // 00000000A40C: 7FE00BF0
	v_cvt_f32_i32_e32 v241, v241                               // 00000000A410: 7FE20BF1
	v_cvt_f32_i32_e32 v242, v242                               // 00000000A414: 7FE40BF2
	v_cvt_f32_i32_e32 v243, v243                               // 00000000A418: 7FE60BF3
	v_pk_fma_f32 v[136:137], v[240:241], v[248:249], v[136:137]// 00000000A41C: D3B04088 1E23F1F0
	v_pk_fma_f32 v[138:139], v[242:243], v[248:249], v[138:139]// 00000000A424: D3B0408A 1E2BF1F2
	s_waitcnt vmcnt(37)                                        // 00000000A42C: BF8C8F75
	v_mfma_i32_16x16x32_i8 v[240:243], a[32:33], v[208:209], 0 // 00000000A430: D3D700F0 0A03A120
	buffer_load_dwordx4 a[128:131], v38, s[92:95], 0 offen     // 00000000A438: E05C1000 80978026
	v_mfma_i32_16x16x32_i8 v[240:243], a[34:35], v[210:211], v[240:243]// 00000000A440: D3D700F0 0FC3A522
	v_mfma_i32_16x16x32_i8 v[240:243], a[36:37], v[212:213], v[240:243]// 00000000A448: D3D700F0 0FC3A924
	v_mfma_i32_16x16x32_i8 v[240:243], a[38:39], v[214:215], v[240:243]// 00000000A450: D3D700F0 0FC3AD26
	v_mfma_i32_16x16x32_i8 v[240:243], a[40:41], v[216:217], v[240:243]// 00000000A458: D3D700F0 0FC3B128
	buffer_load_dwordx4 a[132:135], v38, s[92:95], 0 offen offset:1024// 00000000A460: E05C1400 80978426
	v_mfma_i32_16x16x32_i8 v[240:243], a[42:43], v[218:219], v[240:243]// 00000000A468: D3D700F0 0FC3B52A
	v_mfma_i32_16x16x32_i8 v[240:243], a[44:45], v[220:221], v[240:243]// 00000000A470: D3D700F0 0FC3B92C
	v_mfma_i32_16x16x32_i8 v[240:243], a[46:47], v[222:223], v[240:243]// 00000000A478: D3D700F0 0FC3BD2E
	v_cvt_f32_i32_e32 v244, v244                               // 00000000A480: 7FE80BF4
	v_cvt_f32_i32_e32 v245, v245                               // 00000000A484: 7FEA0BF5
	v_cvt_f32_i32_e32 v246, v246                               // 00000000A488: 7FEC0BF6
	v_cvt_f32_i32_e32 v247, v247                               // 00000000A48C: 7FEE0BF7
	v_pk_fma_f32 v[140:141], v[244:245], v[250:251], v[140:141]// 00000000A490: D3B0408C 1E33F5F4
	v_pk_fma_f32 v[142:143], v[246:247], v[250:251], v[142:143]// 00000000A498: D3B0408E 1E3BF5F6
	v_mfma_i32_16x16x32_i8 v[244:247], a[32:33], v[224:225], 0 // 00000000A4A0: D3D700F4 0A03C120
	buffer_load_dwordx4 a[136:139], v38, s[92:95], 0 offen offset:2048// 00000000A4A8: E05C1800 80978826
	v_mfma_i32_16x16x32_i8 v[244:247], a[34:35], v[226:227], v[244:247]// 00000000A4B0: D3D700F4 0FD3C522
	v_mfma_i32_16x16x32_i8 v[244:247], a[36:37], v[228:229], v[244:247]// 00000000A4B8: D3D700F4 0FD3C924
	v_mfma_i32_16x16x32_i8 v[244:247], a[38:39], v[230:231], v[244:247]// 00000000A4C0: D3D700F4 0FD3CD26
	v_mfma_i32_16x16x32_i8 v[244:247], a[40:41], v[232:233], v[244:247]// 00000000A4C8: D3D700F4 0FD3D128
	buffer_load_dwordx4 a[140:143], v38, s[92:95], 0 offen offset:3072// 00000000A4D0: E05C1C00 80978C26
	v_mfma_i32_16x16x32_i8 v[244:247], a[42:43], v[234:235], v[244:247]// 00000000A4D8: D3D700F4 0FD3D52A
	v_mfma_i32_16x16x32_i8 v[244:247], a[44:45], v[236:237], v[244:247]// 00000000A4E0: D3D700F4 0FD3D92C
	v_mfma_i32_16x16x32_i8 v[244:247], a[46:47], v[238:239], v[244:247]// 00000000A4E8: D3D700F4 0FD3DD2E
	v_cvt_f32_i32_e32 v240, v240                               // 00000000A4F0: 7FE00BF0
	v_cvt_f32_i32_e32 v241, v241                               // 00000000A4F4: 7FE20BF1
	v_cvt_f32_i32_e32 v242, v242                               // 00000000A4F8: 7FE40BF2
	v_cvt_f32_i32_e32 v243, v243                               // 00000000A4FC: 7FE60BF3
	v_pk_fma_f32 v[144:145], v[240:241], v[248:249], v[144:145]// 00000000A500: D3B04090 1E43F1F0
	v_pk_fma_f32 v[146:147], v[242:243], v[248:249], v[146:147]// 00000000A508: D3B04092 1E4BF1F2
	s_waitcnt vmcnt(37)                                        // 00000000A510: BF8C8F75
	v_mfma_i32_16x16x32_i8 v[240:243], a[48:49], v[208:209], 0 // 00000000A514: D3D700F0 0A03A130
	buffer_load_dwordx4 a[144:147], v39, s[92:95], 0 offen     // 00000000A51C: E05C1000 80979027
	v_mfma_i32_16x16x32_i8 v[240:243], a[50:51], v[210:211], v[240:243]// 00000000A524: D3D700F0 0FC3A532
	v_mfma_i32_16x16x32_i8 v[240:243], a[52:53], v[212:213], v[240:243]// 00000000A52C: D3D700F0 0FC3A934
	v_mfma_i32_16x16x32_i8 v[240:243], a[54:55], v[214:215], v[240:243]// 00000000A534: D3D700F0 0FC3AD36
	v_mfma_i32_16x16x32_i8 v[240:243], a[56:57], v[216:217], v[240:243]// 00000000A53C: D3D700F0 0FC3B138
	buffer_load_dwordx4 a[148:151], v39, s[92:95], 0 offen offset:1024// 00000000A544: E05C1400 80979427
	v_mfma_i32_16x16x32_i8 v[240:243], a[58:59], v[218:219], v[240:243]// 00000000A54C: D3D700F0 0FC3B53A
	v_mfma_i32_16x16x32_i8 v[240:243], a[60:61], v[220:221], v[240:243]// 00000000A554: D3D700F0 0FC3B93C
	v_mfma_i32_16x16x32_i8 v[240:243], a[62:63], v[222:223], v[240:243]// 00000000A55C: D3D700F0 0FC3BD3E
	v_cvt_f32_i32_e32 v244, v244                               // 00000000A564: 7FE80BF4
	v_cvt_f32_i32_e32 v245, v245                               // 00000000A568: 7FEA0BF5
	v_cvt_f32_i32_e32 v246, v246                               // 00000000A56C: 7FEC0BF6
	v_cvt_f32_i32_e32 v247, v247                               // 00000000A570: 7FEE0BF7
	v_pk_fma_f32 v[148:149], v[244:245], v[250:251], v[148:149]// 00000000A574: D3B04094 1E53F5F4
	v_pk_fma_f32 v[150:151], v[246:247], v[250:251], v[150:151]// 00000000A57C: D3B04096 1E5BF5F6
	v_mfma_i32_16x16x32_i8 v[244:247], a[48:49], v[224:225], 0 // 00000000A584: D3D700F4 0A03C130
	buffer_load_dwordx4 a[152:155], v39, s[92:95], 0 offen offset:2048// 00000000A58C: E05C1800 80979827
	v_mfma_i32_16x16x32_i8 v[244:247], a[50:51], v[226:227], v[244:247]// 00000000A594: D3D700F4 0FD3C532
	v_mfma_i32_16x16x32_i8 v[244:247], a[52:53], v[228:229], v[244:247]// 00000000A59C: D3D700F4 0FD3C934
	v_mfma_i32_16x16x32_i8 v[244:247], a[54:55], v[230:231], v[244:247]// 00000000A5A4: D3D700F4 0FD3CD36
	v_mfma_i32_16x16x32_i8 v[244:247], a[56:57], v[232:233], v[244:247]// 00000000A5AC: D3D700F4 0FD3D138
	buffer_load_dwordx4 a[156:159], v39, s[92:95], 0 offen offset:3072// 00000000A5B4: E05C1C00 80979C27
	v_mfma_i32_16x16x32_i8 v[244:247], a[58:59], v[234:235], v[244:247]// 00000000A5BC: D3D700F4 0FD3D53A
	v_mfma_i32_16x16x32_i8 v[244:247], a[60:61], v[236:237], v[244:247]// 00000000A5C4: D3D700F4 0FD3D93C
	v_mfma_i32_16x16x32_i8 v[244:247], a[62:63], v[238:239], v[244:247]// 00000000A5CC: D3D700F4 0FD3DD3E
	v_cvt_f32_i32_e32 v240, v240                               // 00000000A5D4: 7FE00BF0
	v_cvt_f32_i32_e32 v241, v241                               // 00000000A5D8: 7FE20BF1
	v_cvt_f32_i32_e32 v242, v242                               // 00000000A5DC: 7FE40BF2
	v_cvt_f32_i32_e32 v243, v243                               // 00000000A5E0: 7FE60BF3
	v_pk_fma_f32 v[152:153], v[240:241], v[248:249], v[152:153]// 00000000A5E4: D3B04098 1E63F1F0
	v_pk_fma_f32 v[154:155], v[242:243], v[248:249], v[154:155]// 00000000A5EC: D3B0409A 1E6BF1F2
	s_waitcnt vmcnt(37)                                        // 00000000A5F4: BF8C8F75
	v_mfma_i32_16x16x32_i8 v[240:243], a[64:65], v[208:209], 0 // 00000000A5F8: D3D700F0 0A03A140
	buffer_load_dwordx4 a[160:163], v40, s[92:95], 0 offen     // 00000000A600: E05C1000 8097A028
	v_mfma_i32_16x16x32_i8 v[240:243], a[66:67], v[210:211], v[240:243]// 00000000A608: D3D700F0 0FC3A542
	v_mfma_i32_16x16x32_i8 v[240:243], a[68:69], v[212:213], v[240:243]// 00000000A610: D3D700F0 0FC3A944
	v_mfma_i32_16x16x32_i8 v[240:243], a[70:71], v[214:215], v[240:243]// 00000000A618: D3D700F0 0FC3AD46
	v_mfma_i32_16x16x32_i8 v[240:243], a[72:73], v[216:217], v[240:243]// 00000000A620: D3D700F0 0FC3B148
	buffer_load_dwordx4 a[164:167], v40, s[92:95], 0 offen offset:1024// 00000000A628: E05C1400 8097A428
	v_mfma_i32_16x16x32_i8 v[240:243], a[74:75], v[218:219], v[240:243]// 00000000A630: D3D700F0 0FC3B54A
	v_mfma_i32_16x16x32_i8 v[240:243], a[76:77], v[220:221], v[240:243]// 00000000A638: D3D700F0 0FC3B94C
	v_mfma_i32_16x16x32_i8 v[240:243], a[78:79], v[222:223], v[240:243]// 00000000A640: D3D700F0 0FC3BD4E
	v_cvt_f32_i32_e32 v244, v244                               // 00000000A648: 7FE80BF4
	v_cvt_f32_i32_e32 v245, v245                               // 00000000A64C: 7FEA0BF5
	v_cvt_f32_i32_e32 v246, v246                               // 00000000A650: 7FEC0BF6
	v_cvt_f32_i32_e32 v247, v247                               // 00000000A654: 7FEE0BF7
	v_pk_fma_f32 v[156:157], v[244:245], v[250:251], v[156:157]// 00000000A658: D3B0409C 1E73F5F4
	v_pk_fma_f32 v[158:159], v[246:247], v[250:251], v[158:159]// 00000000A660: D3B0409E 1E7BF5F6
	v_mfma_i32_16x16x32_i8 v[244:247], a[64:65], v[224:225], 0 // 00000000A668: D3D700F4 0A03C140
	buffer_load_dwordx4 a[168:171], v40, s[92:95], 0 offen offset:2048// 00000000A670: E05C1800 8097A828
	v_mfma_i32_16x16x32_i8 v[244:247], a[66:67], v[226:227], v[244:247]// 00000000A678: D3D700F4 0FD3C542
	v_mfma_i32_16x16x32_i8 v[244:247], a[68:69], v[228:229], v[244:247]// 00000000A680: D3D700F4 0FD3C944
	v_mfma_i32_16x16x32_i8 v[244:247], a[70:71], v[230:231], v[244:247]// 00000000A688: D3D700F4 0FD3CD46
	v_mfma_i32_16x16x32_i8 v[244:247], a[72:73], v[232:233], v[244:247]// 00000000A690: D3D700F4 0FD3D148
	buffer_load_dwordx4 a[172:175], v40, s[92:95], 0 offen offset:3072// 00000000A698: E05C1C00 8097AC28
	v_mfma_i32_16x16x32_i8 v[244:247], a[74:75], v[234:235], v[244:247]// 00000000A6A0: D3D700F4 0FD3D54A
	v_mfma_i32_16x16x32_i8 v[244:247], a[76:77], v[236:237], v[244:247]// 00000000A6A8: D3D700F4 0FD3D94C
	v_mfma_i32_16x16x32_i8 v[244:247], a[78:79], v[238:239], v[244:247]// 00000000A6B0: D3D700F4 0FD3DD4E
	v_cvt_f32_i32_e32 v240, v240                               // 00000000A6B8: 7FE00BF0
	v_cvt_f32_i32_e32 v241, v241                               // 00000000A6BC: 7FE20BF1
	v_cvt_f32_i32_e32 v242, v242                               // 00000000A6C0: 7FE40BF2
	v_cvt_f32_i32_e32 v243, v243                               // 00000000A6C4: 7FE60BF3
	v_pk_fma_f32 v[160:161], v[240:241], v[248:249], v[160:161]// 00000000A6C8: D3B040A0 1E83F1F0
	v_pk_fma_f32 v[162:163], v[242:243], v[248:249], v[162:163]// 00000000A6D0: D3B040A2 1E8BF1F2
	s_waitcnt vmcnt(37)                                        // 00000000A6D8: BF8C8F75
	v_mfma_i32_16x16x32_i8 v[240:243], a[80:81], v[208:209], 0 // 00000000A6DC: D3D700F0 0A03A150
	buffer_load_dwordx4 a[176:179], v41, s[92:95], 0 offen     // 00000000A6E4: E05C1000 8097B029
	v_mfma_i32_16x16x32_i8 v[240:243], a[82:83], v[210:211], v[240:243]// 00000000A6EC: D3D700F0 0FC3A552
	v_mfma_i32_16x16x32_i8 v[240:243], a[84:85], v[212:213], v[240:243]// 00000000A6F4: D3D700F0 0FC3A954
	v_mfma_i32_16x16x32_i8 v[240:243], a[86:87], v[214:215], v[240:243]// 00000000A6FC: D3D700F0 0FC3AD56
	v_mfma_i32_16x16x32_i8 v[240:243], a[88:89], v[216:217], v[240:243]// 00000000A704: D3D700F0 0FC3B158
	buffer_load_dwordx4 a[180:183], v41, s[92:95], 0 offen offset:1024// 00000000A70C: E05C1400 8097B429
	v_mfma_i32_16x16x32_i8 v[240:243], a[90:91], v[218:219], v[240:243]// 00000000A714: D3D700F0 0FC3B55A
	v_mfma_i32_16x16x32_i8 v[240:243], a[92:93], v[220:221], v[240:243]// 00000000A71C: D3D700F0 0FC3B95C
	v_mfma_i32_16x16x32_i8 v[240:243], a[94:95], v[222:223], v[240:243]// 00000000A724: D3D700F0 0FC3BD5E
	v_cvt_f32_i32_e32 v244, v244                               // 00000000A72C: 7FE80BF4
	v_cvt_f32_i32_e32 v245, v245                               // 00000000A730: 7FEA0BF5
	v_cvt_f32_i32_e32 v246, v246                               // 00000000A734: 7FEC0BF6
	v_cvt_f32_i32_e32 v247, v247                               // 00000000A738: 7FEE0BF7
	v_pk_fma_f32 v[164:165], v[244:245], v[250:251], v[164:165]// 00000000A73C: D3B040A4 1E93F5F4
	v_pk_fma_f32 v[166:167], v[246:247], v[250:251], v[166:167]// 00000000A744: D3B040A6 1E9BF5F6
	v_mfma_i32_16x16x32_i8 v[244:247], a[80:81], v[224:225], 0 // 00000000A74C: D3D700F4 0A03C150
	buffer_load_dwordx4 a[184:187], v41, s[92:95], 0 offen offset:2048// 00000000A754: E05C1800 8097B829
	v_mfma_i32_16x16x32_i8 v[244:247], a[82:83], v[226:227], v[244:247]// 00000000A75C: D3D700F4 0FD3C552
	v_mfma_i32_16x16x32_i8 v[244:247], a[84:85], v[228:229], v[244:247]// 00000000A764: D3D700F4 0FD3C954
	v_mfma_i32_16x16x32_i8 v[244:247], a[86:87], v[230:231], v[244:247]// 00000000A76C: D3D700F4 0FD3CD56
	v_mfma_i32_16x16x32_i8 v[244:247], a[88:89], v[232:233], v[244:247]// 00000000A774: D3D700F4 0FD3D158
	buffer_load_dwordx4 a[188:191], v41, s[92:95], 0 offen offset:3072// 00000000A77C: E05C1C00 8097BC29
	v_mfma_i32_16x16x32_i8 v[244:247], a[90:91], v[234:235], v[244:247]// 00000000A784: D3D700F4 0FD3D55A
	v_mfma_i32_16x16x32_i8 v[244:247], a[92:93], v[236:237], v[244:247]// 00000000A78C: D3D700F4 0FD3D95C
	v_mfma_i32_16x16x32_i8 v[244:247], a[94:95], v[238:239], v[244:247]// 00000000A794: D3D700F4 0FD3DD5E
	v_cvt_f32_i32_e32 v240, v240                               // 00000000A79C: 7FE00BF0
	v_cvt_f32_i32_e32 v241, v241                               // 00000000A7A0: 7FE20BF1
	v_cvt_f32_i32_e32 v242, v242                               // 00000000A7A4: 7FE40BF2
	v_cvt_f32_i32_e32 v243, v243                               // 00000000A7A8: 7FE60BF3
	v_pk_fma_f32 v[168:169], v[240:241], v[248:249], v[168:169]// 00000000A7AC: D3B040A8 1EA3F1F0
	v_pk_fma_f32 v[170:171], v[242:243], v[248:249], v[170:171]// 00000000A7B4: D3B040AA 1EABF1F2
	v_cvt_f32_i32_e32 v244, v244                               // 00000000A7BC: 7FE80BF4
	v_cvt_f32_i32_e32 v245, v245                               // 00000000A7C0: 7FEA0BF5
	v_cvt_f32_i32_e32 v246, v246                               // 00000000A7C4: 7FEC0BF6
	v_cvt_f32_i32_e32 v247, v247                               // 00000000A7C8: 7FEE0BF7
	v_pk_fma_f32 v[172:173], v[244:245], v[250:251], v[172:173]// 00000000A7CC: D3B040AC 1EB3F5F4
	v_pk_fma_f32 v[174:175], v[246:247], v[250:251], v[174:175]// 00000000A7D4: D3B040AE 1EBBF5F6
	s_waitcnt vmcnt(16)                                        // 00000000A7DC: BF8C4F70
	s_barrier                                                  // 00000000A7E0: BF8A0000
	v_mfma_i32_16x16x32_i8 v[240:243], a[96:97], v[208:209], 0 // 00000000A7E4: D3D700F0 0A03A160
	buffer_load_dwordx4 a[0:3], v36, s[24:27], 0 offen         // 00000000A7EC: E05C1000 80860024
	v_mfma_i32_16x16x32_i8 v[240:243], a[98:99], v[210:211], v[240:243]// 00000000A7F4: D3D700F0 0FC3A562
	ds_read_b64 v[176:177], v2 offset:2048                     // 00000000A7FC: D8EC0800 B0000002
	ds_read_b64 v[180:181], v2 offset:10368                    // 00000000A804: D8EC2880 B4000002
	v_mfma_i32_16x16x32_i8 v[240:243], a[100:101], v[212:213], v[240:243]// 00000000A80C: D3D700F0 0FC3A964
	v_mfma_i32_16x16x32_i8 v[240:243], a[102:103], v[214:215], v[240:243]// 00000000A814: D3D700F0 0FC3AD66
	ds_read_b64 v[184:185], v2 offset:2176                     // 00000000A81C: D8EC0880 B8000002
	ds_read_b64 v[188:189], v2 offset:10496                    // 00000000A824: D8EC2900 BC000002
	v_mfma_i32_16x16x32_i8 v[240:243], a[104:105], v[216:217], v[240:243]// 00000000A82C: D3D700F0 0FC3B168
	buffer_load_dwordx4 a[4:7], v36, s[24:27], 0 offen offset:1024// 00000000A834: E05C1400 80860424
	v_mfma_i32_16x16x32_i8 v[240:243], a[106:107], v[218:219], v[240:243]// 00000000A83C: D3D700F0 0FC3B56A
	ds_read_b64 v[192:193], v2 offset:2304                     // 00000000A844: D8EC0900 C0000002
	ds_read_b64 v[196:197], v2 offset:10624                    // 00000000A84C: D8EC2980 C4000002
	v_mfma_i32_16x16x32_i8 v[240:243], a[108:109], v[220:221], v[240:243]// 00000000A854: D3D700F0 0FC3B96C
	v_mfma_i32_16x16x32_i8 v[240:243], a[110:111], v[222:223], v[240:243]// 00000000A85C: D3D700F0 0FC3BD6E
	ds_read_b64 v[200:201], v2 offset:2432                     // 00000000A864: D8EC0980 C8000002
	ds_read_b64 v[204:205], v2 offset:10752                    // 00000000A86C: D8EC2A00 CC000002
	s_waitcnt lgkmcnt(4)                                       // 00000000A874: BF8CC47F
	v_and_b32_e32 v179, 0xffff0000, v177                       // 00000000A878: 276762FF FFFF0000
	v_lshlrev_b32_e32 v178, 16, v177                           // 00000000A880: 25656290
	v_and_b32_e32 v177, 0xffff0000, v176                       // 00000000A884: 276360FF FFFF0000
	v_lshlrev_b32_e32 v176, 16, v176                           // 00000000A88C: 25616090
	v_and_b32_e32 v183, 0xffff0000, v181                       // 00000000A890: 276F6AFF FFFF0000
	v_lshlrev_b32_e32 v182, 16, v181                           // 00000000A898: 256D6A90
	v_and_b32_e32 v181, 0xffff0000, v180                       // 00000000A89C: 276B68FF FFFF0000
	v_lshlrev_b32_e32 v180, 16, v180                           // 00000000A8A4: 25696890
	v_and_b32_e32 v187, 0xffff0000, v185                       // 00000000A8A8: 277772FF FFFF0000
	v_lshlrev_b32_e32 v186, 16, v185                           // 00000000A8B0: 25757290
	v_and_b32_e32 v185, 0xffff0000, v184                       // 00000000A8B4: 277370FF FFFF0000
	v_lshlrev_b32_e32 v184, 16, v184                           // 00000000A8BC: 25717090
	v_and_b32_e32 v191, 0xffff0000, v189                       // 00000000A8C0: 277F7AFF FFFF0000
	v_lshlrev_b32_e32 v190, 16, v189                           // 00000000A8C8: 257D7A90
	v_and_b32_e32 v189, 0xffff0000, v188                       // 00000000A8CC: 277B78FF FFFF0000
	v_lshlrev_b32_e32 v188, 16, v188                           // 00000000A8D4: 25797890
	v_mul_f32_dpp v176, v14, v176 row_newbcast:0 row_mask:0xf bank_mask:0xf// 00000000A8D8: 0B6160FA FF01500E
	v_mul_f32_dpp v177, v14, v177 row_newbcast:1 row_mask:0xf bank_mask:0xf// 00000000A8E0: 0B6362FA FF01510E
	v_mul_f32_dpp v178, v14, v178 row_newbcast:2 row_mask:0xf bank_mask:0xf// 00000000A8E8: 0B6564FA FF01520E
	v_mul_f32_dpp v179, v14, v179 row_newbcast:3 row_mask:0xf bank_mask:0xf// 00000000A8F0: 0B6766FA FF01530E
	v_mul_f32_dpp v180, v14, v180 row_newbcast:0 row_mask:0xf bank_mask:0xf// 00000000A8F8: 0B6968FA FF01500E
	v_mul_f32_dpp v181, v14, v181 row_newbcast:1 row_mask:0xf bank_mask:0xf// 00000000A900: 0B6B6AFA FF01510E
	v_mul_f32_dpp v182, v14, v182 row_newbcast:2 row_mask:0xf bank_mask:0xf// 00000000A908: 0B6D6CFA FF01520E
	v_mul_f32_dpp v183, v14, v183 row_newbcast:3 row_mask:0xf bank_mask:0xf// 00000000A910: 0B6F6EFA FF01530E
	v_mul_f32_dpp v184, v14, v184 row_newbcast:4 row_mask:0xf bank_mask:0xf// 00000000A918: 0B7170FA FF01540E
	v_mul_f32_dpp v185, v14, v185 row_newbcast:5 row_mask:0xf bank_mask:0xf// 00000000A920: 0B7372FA FF01550E
	v_mul_f32_dpp v186, v14, v186 row_newbcast:6 row_mask:0xf bank_mask:0xf// 00000000A928: 0B7574FA FF01560E
	v_mul_f32_dpp v187, v14, v187 row_newbcast:7 row_mask:0xf bank_mask:0xf// 00000000A930: 0B7776FA FF01570E
	v_mul_f32_dpp v188, v14, v188 row_newbcast:4 row_mask:0xf bank_mask:0xf// 00000000A938: 0B7978FA FF01540E
	v_mul_f32_dpp v189, v14, v189 row_newbcast:5 row_mask:0xf bank_mask:0xf// 00000000A940: 0B7B7AFA FF01550E
	v_mul_f32_dpp v190, v14, v190 row_newbcast:6 row_mask:0xf bank_mask:0xf// 00000000A948: 0B7D7CFA FF01560E
	v_mul_f32_dpp v191, v14, v191 row_newbcast:7 row_mask:0xf bank_mask:0xf// 00000000A950: 0B7F7EFA FF01570E
	v_mfma_i32_16x16x32_i8 v[244:247], a[96:97], v[224:225], 0 // 00000000A958: D3D700F4 0A03C160
	buffer_load_dwordx4 a[8:11], v36, s[24:27], 0 offen offset:2048// 00000000A960: E05C1800 80860824
	v_mfma_i32_16x16x32_i8 v[244:247], a[98:99], v[226:227], v[244:247]// 00000000A968: D3D700F4 0FD3C562
	v_mfma_i32_16x16x32_i8 v[244:247], a[100:101], v[228:229], v[244:247]// 00000000A970: D3D700F4 0FD3C964
	v_mfma_i32_16x16x32_i8 v[244:247], a[102:103], v[230:231], v[244:247]// 00000000A978: D3D700F4 0FD3CD66
	v_mfma_i32_16x16x32_i8 v[244:247], a[104:105], v[232:233], v[244:247]// 00000000A980: D3D700F4 0FD3D168
	buffer_load_dwordx4 a[12:15], v36, s[24:27], 0 offen offset:3072// 00000000A988: E05C1C00 80860C24
	v_mfma_i32_16x16x32_i8 v[244:247], a[106:107], v[234:235], v[244:247]// 00000000A990: D3D700F4 0FD3D56A
	v_mfma_i32_16x16x32_i8 v[244:247], a[108:109], v[236:237], v[244:247]// 00000000A998: D3D700F4 0FD3D96C
	v_mfma_i32_16x16x32_i8 v[244:247], a[110:111], v[238:239], v[244:247]// 00000000A9A0: D3D700F4 0FD3DD6E
	s_waitcnt lgkmcnt(0)                                       // 00000000A9A8: BF8CC07F
	v_and_b32_e32 v195, 0xffff0000, v193                       // 00000000A9AC: 278782FF FFFF0000
	v_lshlrev_b32_e32 v194, 16, v193                           // 00000000A9B4: 25858290
	v_and_b32_e32 v193, 0xffff0000, v192                       // 00000000A9B8: 278380FF FFFF0000
	v_lshlrev_b32_e32 v192, 16, v192                           // 00000000A9C0: 25818090
	v_and_b32_e32 v199, 0xffff0000, v197                       // 00000000A9C4: 278F8AFF FFFF0000
	v_lshlrev_b32_e32 v198, 16, v197                           // 00000000A9CC: 258D8A90
	v_and_b32_e32 v197, 0xffff0000, v196                       // 00000000A9D0: 278B88FF FFFF0000
	v_lshlrev_b32_e32 v196, 16, v196                           // 00000000A9D8: 25898890
	v_and_b32_e32 v203, 0xffff0000, v201                       // 00000000A9DC: 279792FF FFFF0000
	v_lshlrev_b32_e32 v202, 16, v201                           // 00000000A9E4: 25959290
	v_and_b32_e32 v201, 0xffff0000, v200                       // 00000000A9E8: 279390FF FFFF0000
	v_lshlrev_b32_e32 v200, 16, v200                           // 00000000A9F0: 25919090
	v_and_b32_e32 v207, 0xffff0000, v205                       // 00000000A9F4: 279F9AFF FFFF0000
	v_lshlrev_b32_e32 v206, 16, v205                           // 00000000A9FC: 259D9A90
	v_and_b32_e32 v205, 0xffff0000, v204                       // 00000000AA00: 279B98FF FFFF0000
	v_lshlrev_b32_e32 v204, 16, v204                           // 00000000AA08: 25999890
	v_mul_f32_dpp v192, v14, v192 row_newbcast:8 row_mask:0xf bank_mask:0xf// 00000000AA0C: 0B8180FA FF01580E
	v_mul_f32_dpp v193, v14, v193 row_newbcast:9 row_mask:0xf bank_mask:0xf// 00000000AA14: 0B8382FA FF01590E
	v_mul_f32_dpp v194, v14, v194 row_newbcast:10 row_mask:0xf bank_mask:0xf// 00000000AA1C: 0B8584FA FF015A0E
	v_mul_f32_dpp v195, v14, v195 row_newbcast:11 row_mask:0xf bank_mask:0xf// 00000000AA24: 0B8786FA FF015B0E
	v_mul_f32_dpp v196, v14, v196 row_newbcast:8 row_mask:0xf bank_mask:0xf// 00000000AA2C: 0B8988FA FF01580E
	v_mul_f32_dpp v197, v14, v197 row_newbcast:9 row_mask:0xf bank_mask:0xf// 00000000AA34: 0B8B8AFA FF01590E
	v_mul_f32_dpp v198, v14, v198 row_newbcast:10 row_mask:0xf bank_mask:0xf// 00000000AA3C: 0B8D8CFA FF015A0E
	v_mul_f32_dpp v199, v14, v199 row_newbcast:11 row_mask:0xf bank_mask:0xf// 00000000AA44: 0B8F8EFA FF015B0E
	v_mul_f32_dpp v200, v14, v200 row_newbcast:12 row_mask:0xf bank_mask:0xf// 00000000AA4C: 0B9190FA FF015C0E
	v_mul_f32_dpp v201, v14, v201 row_newbcast:13 row_mask:0xf bank_mask:0xf// 00000000AA54: 0B9392FA FF015D0E
	v_mul_f32_dpp v202, v14, v202 row_newbcast:14 row_mask:0xf bank_mask:0xf// 00000000AA5C: 0B9594FA FF015E0E
	v_mul_f32_dpp v203, v14, v203 row_newbcast:15 row_mask:0xf bank_mask:0xf// 00000000AA64: 0B9796FA FF015F0E
	v_mul_f32_dpp v204, v14, v204 row_newbcast:12 row_mask:0xf bank_mask:0xf// 00000000AA6C: 0B9998FA FF015C0E
	v_mul_f32_dpp v205, v14, v205 row_newbcast:13 row_mask:0xf bank_mask:0xf// 00000000AA74: 0B9B9AFA FF015D0E
	v_mul_f32_dpp v206, v14, v206 row_newbcast:14 row_mask:0xf bank_mask:0xf// 00000000AA7C: 0B9D9CFA FF015E0E
	v_mul_f32_dpp v207, v14, v207 row_newbcast:15 row_mask:0xf bank_mask:0xf// 00000000AA84: 0B9F9EFA FF015F0E
	v_cvt_f32_i32_e32 v240, v240                               // 00000000AA8C: 7FE00BF0
	v_cvt_f32_i32_e32 v241, v241                               // 00000000AA90: 7FE20BF1
	v_cvt_f32_i32_e32 v242, v242                               // 00000000AA94: 7FE40BF2
	v_cvt_f32_i32_e32 v243, v243                               // 00000000AA98: 7FE60BF3
	v_pk_fma_f32 v[64:65], v[240:241], v[248:249], v[64:65]    // 00000000AA9C: D3B04040 1D03F1F0
	v_pk_fma_f32 v[66:67], v[242:243], v[248:249], v[66:67]    // 00000000AAA4: D3B04042 1D0BF1F2
	v_mfma_i32_16x16x32_i8 v[240:243], a[112:113], v[208:209], 0// 00000000AAAC: D3D700F0 0A03A170
	buffer_load_dwordx4 a[16:19], v37, s[24:27], 0 offen       // 00000000AAB4: E05C1000 80861025
	v_mfma_i32_16x16x32_i8 v[240:243], a[114:115], v[210:211], v[240:243]// 00000000AABC: D3D700F0 0FC3A572
	v_mov_b32_e32 v46, 0x358637bd                              // 00000000AAC4: 7E5C02FF 358637BD
	v_mov_b32_e32 v47, 0x358637bd                              // 00000000AACC: 7E5E02FF 358637BD
	v_max3_f32 v46, |v176|, |v177|, v46                        // 00000000AAD4: D1D3032E 04BB63B0
	v_max3_f32 v46, |v178|, |v179|, v46                        // 00000000AADC: D1D3032E 04BB67B2
	v_max3_f32 v47, |v180|, |v181|, v47                        // 00000000AAE4: D1D3032F 04BF6BB4
	v_max3_f32 v47, |v182|, |v183|, v47                        // 00000000AAEC: D1D3032F 04BF6FB6
	v_max3_f32 v46, |v184|, |v185|, v46                        // 00000000AAF4: D1D3032E 04BB73B8
	v_max3_f32 v46, |v186|, |v187|, v46                        // 00000000AAFC: D1D3032E 04BB77BA
	v_max3_f32 v47, |v188|, |v189|, v47                        // 00000000AB04: D1D3032F 04BF7BBC
	v_max3_f32 v47, |v190|, |v191|, v47                        // 00000000AB0C: D1D3032F 04BF7FBE
	v_max3_f32 v46, |v192|, |v193|, v46                        // 00000000AB14: D1D3032E 04BB83C0
	v_max3_f32 v46, |v194|, |v195|, v46                        // 00000000AB1C: D1D3032E 04BB87C2
	v_max3_f32 v47, |v196|, |v197|, v47                        // 00000000AB24: D1D3032F 04BF8BC4
	v_max3_f32 v47, |v198|, |v199|, v47                        // 00000000AB2C: D1D3032F 04BF8FC6
	v_max3_f32 v46, |v200|, |v201|, v46                        // 00000000AB34: D1D3032E 04BB93C8
	v_max3_f32 v46, |v202|, |v203|, v46                        // 00000000AB3C: D1D3032E 04BB97CA
	v_max3_f32 v47, |v204|, |v205|, v47                        // 00000000AB44: D1D3032F 04BF9BCC
	v_max3_f32 v47, |v206|, |v207|, v47                        // 00000000AB4C: D1D3032F 04BF9FCE
	v_mfma_i32_16x16x32_i8 v[240:243], a[116:117], v[212:213], v[240:243]// 00000000AB54: D3D700F0 0FC3A974
	v_mfma_i32_16x16x32_i8 v[240:243], a[118:119], v[214:215], v[240:243]// 00000000AB5C: D3D700F0 0FC3AD76
	ds_write_b64 v3, v[46:47]                                  // 00000000AB64: D89A0000 00002E03
	v_mfma_i32_16x16x32_i8 v[240:243], a[120:121], v[216:217], v[240:243]// 00000000AB6C: D3D700F0 0FC3B178
	buffer_load_dwordx4 a[20:23], v37, s[24:27], 0 offen offset:1024// 00000000AB74: E05C1400 80861425
	v_mfma_i32_16x16x32_i8 v[240:243], a[122:123], v[218:219], v[240:243]// 00000000AB7C: D3D700F0 0FC3B57A
	s_waitcnt lgkmcnt(0)                                       // 00000000AB84: BF8CC07F
	s_barrier                                                  // 00000000AB88: BF8A0000
	v_mfma_i32_16x16x32_i8 v[240:243], a[124:125], v[220:221], v[240:243]// 00000000AB8C: D3D700F0 0FC3B97C
	v_mfma_i32_16x16x32_i8 v[240:243], a[126:127], v[222:223], v[240:243]// 00000000AB94: D3D700F0 0FC3BD7E
	ds_read_b64 v[46:47], v4                                   // 00000000AB9C: D8EC0000 2E000004
	ds_read_b64 v[48:49], v4 offset:128                        // 00000000ABA4: D8EC0080 30000004
	v_cvt_f32_i32_e32 v244, v244                               // 00000000ABAC: 7FE80BF4
	v_cvt_f32_i32_e32 v245, v245                               // 00000000ABB0: 7FEA0BF5
	v_cvt_f32_i32_e32 v246, v246                               // 00000000ABB4: 7FEC0BF6
	v_cvt_f32_i32_e32 v247, v247                               // 00000000ABB8: 7FEE0BF7
	v_pk_fma_f32 v[68:69], v[244:245], v[250:251], v[68:69]    // 00000000ABBC: D3B04044 1D13F5F4
	v_pk_fma_f32 v[70:71], v[246:247], v[250:251], v[70:71]    // 00000000ABC4: D3B04046 1D1BF5F6
	v_mfma_i32_16x16x32_i8 v[244:247], a[112:113], v[224:225], 0// 00000000ABCC: D3D700F4 0A03C170
	buffer_load_dwordx4 a[24:27], v37, s[24:27], 0 offen offset:2048// 00000000ABD4: E05C1800 80861825
	v_mfma_i32_16x16x32_i8 v[244:247], a[114:115], v[226:227], v[244:247]// 00000000ABDC: D3D700F4 0FD3C572
	ds_read_b64 v[50:51], v4 offset:256                        // 00000000ABE4: D8EC0100 32000004
	ds_read_b64 v[52:53], v4 offset:384                        // 00000000ABEC: D8EC0180 34000004
	v_mfma_i32_16x16x32_i8 v[244:247], a[116:117], v[228:229], v[244:247]// 00000000ABF4: D3D700F4 0FD3C974
	v_mfma_i32_16x16x32_i8 v[244:247], a[118:119], v[230:231], v[244:247]// 00000000ABFC: D3D700F4 0FD3CD76
	ds_read_b64 v[54:55], v4 offset:512                        // 00000000AC04: D8EC0200 36000004
	ds_read_b64 v[56:57], v4 offset:640                        // 00000000AC0C: D8EC0280 38000004
	v_mfma_i32_16x16x32_i8 v[244:247], a[120:121], v[232:233], v[244:247]// 00000000AC14: D3D700F4 0FD3D178
	buffer_load_dwordx4 a[28:31], v37, s[24:27], 0 offen offset:3072// 00000000AC1C: E05C1C00 80861C25
	v_mfma_i32_16x16x32_i8 v[244:247], a[122:123], v[234:235], v[244:247]// 00000000AC24: D3D700F4 0FD3D57A
	ds_read_b64 v[58:59], v4 offset:768                        // 00000000AC2C: D8EC0300 3A000004
	ds_read_b64 v[60:61], v4 offset:896                        // 00000000AC34: D8EC0380 3C000004
	v_mfma_i32_16x16x32_i8 v[244:247], a[124:125], v[236:237], v[244:247]// 00000000AC3C: D3D700F4 0FD3D97C
	v_mfma_i32_16x16x32_i8 v[244:247], a[126:127], v[238:239], v[244:247]// 00000000AC44: D3D700F4 0FD3DD7E
	v_cvt_f32_i32_e32 v240, v240                               // 00000000AC4C: 7FE00BF0
	v_cvt_f32_i32_e32 v241, v241                               // 00000000AC50: 7FE20BF1
	v_cvt_f32_i32_e32 v242, v242                               // 00000000AC54: 7FE40BF2
	v_cvt_f32_i32_e32 v243, v243                               // 00000000AC58: 7FE60BF3
	v_pk_fma_f32 v[72:73], v[240:241], v[248:249], v[72:73]    // 00000000AC5C: D3B04048 1D23F1F0
	v_pk_fma_f32 v[74:75], v[242:243], v[248:249], v[74:75]    // 00000000AC64: D3B0404A 1D2BF1F2
	s_waitcnt vmcnt(20)                                        // 00000000AC6C: BF8C4F74
	v_mfma_i32_16x16x32_i8 v[240:243], a[128:129], v[208:209], 0// 00000000AC70: D3D700F0 0A03A180
	buffer_load_dwordx4 a[32:35], v38, s[24:27], 0 offen       // 00000000AC78: E05C1000 80862026
	v_mfma_i32_16x16x32_i8 v[240:243], a[130:131], v[210:211], v[240:243]// 00000000AC80: D3D700F0 0FC3A582
	s_waitcnt lgkmcnt(0)                                       // 00000000AC88: BF8CC07F
	v_mov_b32_e32 v22, 0x358637bd                              // 00000000AC8C: 7E2C02FF 358637BD
	v_mov_b32_e32 v23, 0x358637bd                              // 00000000AC94: 7E2E02FF 358637BD
	v_max3_f32 v22, |v46|, |v48|, v22                          // 00000000AC9C: D1D30316 045A612E
	v_max3_f32 v23, |v47|, |v49|, v23                          // 00000000ACA4: D1D30317 045E632F
	v_max3_f32 v22, |v50|, |v52|, v22                          // 00000000ACAC: D1D30316 045A6932
	v_max3_f32 v23, |v51|, |v53|, v23                          // 00000000ACB4: D1D30317 045E6B33
	v_max3_f32 v22, |v54|, |v56|, v22                          // 00000000ACBC: D1D30316 045A7136
	v_max3_f32 v23, |v55|, |v57|, v23                          // 00000000ACC4: D1D30317 045E7337
	v_max3_f32 v22, |v58|, |v60|, v22                          // 00000000ACCC: D1D30316 045A793A
	v_max3_f32 v23, |v59|, |v61|, v23                          // 00000000ACD4: D1D30317 045E7B3B
	v_mfma_i32_16x16x32_i8 v[240:243], a[132:133], v[212:213], v[240:243]// 00000000ACDC: D3D700F0 0FC3A984
	v_mfma_i32_16x16x32_i8 v[240:243], a[134:135], v[214:215], v[240:243]// 00000000ACE4: D3D700F0 0FC3AD86
	ds_read_b64 v[46:47], v4 offset:1024                       // 00000000ACEC: D8EC0400 2E000004
	ds_read_b64 v[48:49], v4 offset:1152                       // 00000000ACF4: D8EC0480 30000004
	v_mfma_i32_16x16x32_i8 v[240:243], a[136:137], v[216:217], v[240:243]// 00000000ACFC: D3D700F0 0FC3B188
	buffer_load_dwordx4 a[36:39], v38, s[24:27], 0 offen offset:1024// 00000000AD04: E05C1400 80862426
	v_mfma_i32_16x16x32_i8 v[240:243], a[138:139], v[218:219], v[240:243]// 00000000AD0C: D3D700F0 0FC3B58A
	ds_read_b64 v[50:51], v4 offset:1280                       // 00000000AD14: D8EC0500 32000004
	ds_read_b64 v[52:53], v4 offset:1408                       // 00000000AD1C: D8EC0580 34000004
	v_mfma_i32_16x16x32_i8 v[240:243], a[140:141], v[220:221], v[240:243]// 00000000AD24: D3D700F0 0FC3B98C
	v_mfma_i32_16x16x32_i8 v[240:243], a[142:143], v[222:223], v[240:243]// 00000000AD2C: D3D700F0 0FC3BD8E
	ds_read_b64 v[54:55], v4 offset:1536                       // 00000000AD34: D8EC0600 36000004
	ds_read_b64 v[56:57], v4 offset:1664                       // 00000000AD3C: D8EC0680 38000004
	v_cvt_f32_i32_e32 v244, v244                               // 00000000AD44: 7FE80BF4
	v_cvt_f32_i32_e32 v245, v245                               // 00000000AD48: 7FEA0BF5
	v_cvt_f32_i32_e32 v246, v246                               // 00000000AD4C: 7FEC0BF6
	v_cvt_f32_i32_e32 v247, v247                               // 00000000AD50: 7FEE0BF7
	v_pk_fma_f32 v[76:77], v[244:245], v[250:251], v[76:77]    // 00000000AD54: D3B0404C 1D33F5F4
	v_pk_fma_f32 v[78:79], v[246:247], v[250:251], v[78:79]    // 00000000AD5C: D3B0404E 1D3BF5F6
	v_mfma_i32_16x16x32_i8 v[244:247], a[128:129], v[224:225], 0// 00000000AD64: D3D700F4 0A03C180
	buffer_load_dwordx4 a[40:43], v38, s[24:27], 0 offen offset:2048// 00000000AD6C: E05C1800 80862826
	v_mfma_i32_16x16x32_i8 v[244:247], a[130:131], v[226:227], v[244:247]// 00000000AD74: D3D700F4 0FD3C582
	ds_read_b64 v[58:59], v4 offset:1792                       // 00000000AD7C: D8EC0700 3A000004
	ds_read_b64 v[60:61], v4 offset:1920                       // 00000000AD84: D8EC0780 3C000004
	v_mfma_i32_16x16x32_i8 v[244:247], a[132:133], v[228:229], v[244:247]// 00000000AD8C: D3D700F4 0FD3C984
	v_mfma_i32_16x16x32_i8 v[244:247], a[134:135], v[230:231], v[244:247]// 00000000AD94: D3D700F4 0FD3CD86
	v_mfma_i32_16x16x32_i8 v[244:247], a[136:137], v[232:233], v[244:247]// 00000000AD9C: D3D700F4 0FD3D188
	buffer_load_dwordx4 a[44:47], v38, s[24:27], 0 offen offset:3072// 00000000ADA4: E05C1C00 80862C26
	v_mfma_i32_16x16x32_i8 v[244:247], a[138:139], v[234:235], v[244:247]// 00000000ADAC: D3D700F4 0FD3D58A
	s_waitcnt lgkmcnt(0)                                       // 00000000ADB4: BF8CC07F
	v_max3_f32 v22, |v46|, |v48|, v22                          // 00000000ADB8: D1D30316 045A612E
	v_max3_f32 v23, |v47|, |v49|, v23                          // 00000000ADC0: D1D30317 045E632F
	v_max3_f32 v22, |v50|, |v52|, v22                          // 00000000ADC8: D1D30316 045A6932
	v_max3_f32 v23, |v51|, |v53|, v23                          // 00000000ADD0: D1D30317 045E6B33
	v_max3_f32 v22, |v54|, |v56|, v22                          // 00000000ADD8: D1D30316 045A7136
	v_max3_f32 v23, |v55|, |v57|, v23                          // 00000000ADE0: D1D30317 045E7337
	v_max3_f32 v22, |v58|, |v60|, v22                          // 00000000ADE8: D1D30316 045A793A
	v_max3_f32 v23, |v59|, |v61|, v23                          // 00000000ADF0: D1D30317 045E7B3B
	v_mov_b32_e32 v42, 0x42fe0000                              // 00000000ADF8: 7E5402FF 42FE0000
	v_rcp_f32_e32 v22, v22                                     // 00000000AE00: 7E2C4516
	v_rcp_f32_e32 v23, v23                                     // 00000000AE04: 7E2E4517
	s_nop 1                                                    // 00000000AE08: BF800001
	v_mul_f32_e32 v22, v42, v22                                // 00000000AE0C: 0A2C2D2A
	v_mul_f32_e32 v23, v42, v23                                // 00000000AE10: 0A2E2F2A
	v_rcp_f32_e32 v24, v22                                     // 00000000AE14: 7E304516
	v_rcp_f32_e32 v25, v23                                     // 00000000AE18: 7E324517
	v_mov_b32_e32 v42, v22                                     // 00000000AE1C: 7E540316
	v_mov_b32_e32 v43, v22                                     // 00000000AE20: 7E560316
	v_mov_b32_e32 v44, v23                                     // 00000000AE24: 7E580317
	v_mov_b32_e32 v45, v23                                     // 00000000AE28: 7E5A0317
	v_pk_mul_f32 v[176:177], v[42:43], v[176:177]              // 00000000AE2C: D3B140B0 1803612A
	v_pk_mul_f32 v[178:179], v[42:43], v[178:179]              // 00000000AE34: D3B140B2 1803652A
	v_cvt_i32_f32_e32 v176, v176                               // 00000000AE3C: 7F6011B0
	v_cvt_i32_f32_e32 v177, v177                               // 00000000AE40: 7F6211B1
	v_cvt_i32_f32_e32 v178, v178                               // 00000000AE44: 7F6411B2
	v_cvt_i32_f32_e32 v179, v179                               // 00000000AE48: 7F6611B3
	v_perm_b32 v176, v177, v176, s53                           // 00000000AE4C: D1ED00B0 00D761B1
	v_perm_b32 v176, v178, v176, s54                           // 00000000AE54: D1ED00B0 00DB61B2
	v_perm_b32 v176, v179, v176, s55                           // 00000000AE5C: D1ED00B0 00DF61B3
	v_pk_mul_f32 v[180:181], v[44:45], v[180:181]              // 00000000AE64: D3B140B4 1803692C
	v_pk_mul_f32 v[182:183], v[44:45], v[182:183]              // 00000000AE6C: D3B140B6 18036D2C
	v_cvt_i32_f32_e32 v180, v180                               // 00000000AE74: 7F6811B4
	v_cvt_i32_f32_e32 v181, v181                               // 00000000AE78: 7F6A11B5
	v_cvt_i32_f32_e32 v182, v182                               // 00000000AE7C: 7F6C11B6
	v_cvt_i32_f32_e32 v183, v183                               // 00000000AE80: 7F6E11B7
	v_perm_b32 v177, v181, v180, s53                           // 00000000AE84: D1ED00B1 00D769B5
	v_perm_b32 v177, v182, v177, s54                           // 00000000AE8C: D1ED00B1 00DB63B6
	v_perm_b32 v177, v183, v177, s55                           // 00000000AE94: D1ED00B1 00DF63B7
	v_pk_mul_f32 v[184:185], v[42:43], v[184:185]              // 00000000AE9C: D3B140B8 1803712A
	v_pk_mul_f32 v[186:187], v[42:43], v[186:187]              // 00000000AEA4: D3B140BA 1803752A
	v_cvt_i32_f32_e32 v184, v184                               // 00000000AEAC: 7F7011B8
	v_cvt_i32_f32_e32 v185, v185                               // 00000000AEB0: 7F7211B9
	v_cvt_i32_f32_e32 v186, v186                               // 00000000AEB4: 7F7411BA
	v_cvt_i32_f32_e32 v187, v187                               // 00000000AEB8: 7F7611BB
	v_perm_b32 v178, v185, v184, s53                           // 00000000AEBC: D1ED00B2 00D771B9
	v_perm_b32 v178, v186, v178, s54                           // 00000000AEC4: D1ED00B2 00DB65BA
	v_perm_b32 v178, v187, v178, s55                           // 00000000AECC: D1ED00B2 00DF65BB
	v_pk_mul_f32 v[188:189], v[44:45], v[188:189]              // 00000000AED4: D3B140BC 1803792C
	v_pk_mul_f32 v[190:191], v[44:45], v[190:191]              // 00000000AEDC: D3B140BE 18037D2C
	v_cvt_i32_f32_e32 v188, v188                               // 00000000AEE4: 7F7811BC
	v_cvt_i32_f32_e32 v189, v189                               // 00000000AEE8: 7F7A11BD
	v_cvt_i32_f32_e32 v190, v190                               // 00000000AEEC: 7F7C11BE
	v_cvt_i32_f32_e32 v191, v191                               // 00000000AEF0: 7F7E11BF
	v_perm_b32 v179, v189, v188, s53                           // 00000000AEF4: D1ED00B3 00D779BD
	v_perm_b32 v179, v190, v179, s54                           // 00000000AEFC: D1ED00B3 00DB67BE
	v_perm_b32 v179, v191, v179, s55                           // 00000000AF04: D1ED00B3 00DF67BF
	v_pk_mul_f32 v[192:193], v[42:43], v[192:193]              // 00000000AF0C: D3B140C0 1803812A
	v_pk_mul_f32 v[194:195], v[42:43], v[194:195]              // 00000000AF14: D3B140C2 1803852A
	v_cvt_i32_f32_e32 v192, v192                               // 00000000AF1C: 7F8011C0
	v_cvt_i32_f32_e32 v193, v193                               // 00000000AF20: 7F8211C1
	v_cvt_i32_f32_e32 v194, v194                               // 00000000AF24: 7F8411C2
	v_cvt_i32_f32_e32 v195, v195                               // 00000000AF28: 7F8611C3
	v_perm_b32 v180, v193, v192, s53                           // 00000000AF2C: D1ED00B4 00D781C1
	v_perm_b32 v180, v194, v180, s54                           // 00000000AF34: D1ED00B4 00DB69C2
	v_perm_b32 v180, v195, v180, s55                           // 00000000AF3C: D1ED00B4 00DF69C3
	v_pk_mul_f32 v[196:197], v[44:45], v[196:197]              // 00000000AF44: D3B140C4 1803892C
	v_pk_mul_f32 v[198:199], v[44:45], v[198:199]              // 00000000AF4C: D3B140C6 18038D2C
	v_cvt_i32_f32_e32 v196, v196                               // 00000000AF54: 7F8811C4
	v_cvt_i32_f32_e32 v197, v197                               // 00000000AF58: 7F8A11C5
	v_cvt_i32_f32_e32 v198, v198                               // 00000000AF5C: 7F8C11C6
	v_cvt_i32_f32_e32 v199, v199                               // 00000000AF60: 7F8E11C7
	v_perm_b32 v181, v197, v196, s53                           // 00000000AF64: D1ED00B5 00D789C5
	v_perm_b32 v181, v198, v181, s54                           // 00000000AF6C: D1ED00B5 00DB6BC6
	v_perm_b32 v181, v199, v181, s55                           // 00000000AF74: D1ED00B5 00DF6BC7
	v_pk_mul_f32 v[200:201], v[42:43], v[200:201]              // 00000000AF7C: D3B140C8 1803912A
	v_pk_mul_f32 v[202:203], v[42:43], v[202:203]              // 00000000AF84: D3B140CA 1803952A
	v_cvt_i32_f32_e32 v200, v200                               // 00000000AF8C: 7F9011C8
	v_cvt_i32_f32_e32 v201, v201                               // 00000000AF90: 7F9211C9
	v_cvt_i32_f32_e32 v202, v202                               // 00000000AF94: 7F9411CA
	v_cvt_i32_f32_e32 v203, v203                               // 00000000AF98: 7F9611CB
	v_perm_b32 v182, v201, v200, s53                           // 00000000AF9C: D1ED00B6 00D791C9
	v_perm_b32 v182, v202, v182, s54                           // 00000000AFA4: D1ED00B6 00DB6DCA
	v_perm_b32 v182, v203, v182, s55                           // 00000000AFAC: D1ED00B6 00DF6DCB
	v_pk_mul_f32 v[204:205], v[44:45], v[204:205]              // 00000000AFB4: D3B140CC 1803992C
	v_pk_mul_f32 v[206:207], v[44:45], v[206:207]              // 00000000AFBC: D3B140CE 18039D2C
	v_cvt_i32_f32_e32 v204, v204                               // 00000000AFC4: 7F9811CC
	v_cvt_i32_f32_e32 v205, v205                               // 00000000AFC8: 7F9A11CD
	v_cvt_i32_f32_e32 v206, v206                               // 00000000AFCC: 7F9C11CE
	v_cvt_i32_f32_e32 v207, v207                               // 00000000AFD0: 7F9E11CF
	v_perm_b32 v183, v205, v204, s53                           // 00000000AFD4: D1ED00B7 00D799CD
	v_perm_b32 v183, v206, v183, s54                           // 00000000AFDC: D1ED00B7 00DB6FCE
	v_perm_b32 v183, v207, v183, s55                           // 00000000AFE4: D1ED00B7 00DF6FCF
	v_mfma_i32_16x16x32_i8 v[244:247], a[140:141], v[236:237], v[244:247]// 00000000AFEC: D3D700F4 0FD3D98C
	v_mfma_i32_16x16x32_i8 v[244:247], a[142:143], v[238:239], v[244:247]// 00000000AFF4: D3D700F4 0FD3DD8E
	ds_write_b32 v12, v176 offset:2048                         // 00000000AFFC: D81A0800 0000B00C
	ds_write_b32 v12, v177 offset:6144                         // 00000000B004: D81A1800 0000B10C
	v_cvt_f32_i32_e32 v240, v240                               // 00000000B00C: 7FE00BF0
	v_cvt_f32_i32_e32 v241, v241                               // 00000000B010: 7FE20BF1
	v_cvt_f32_i32_e32 v242, v242                               // 00000000B014: 7FE40BF2
	v_cvt_f32_i32_e32 v243, v243                               // 00000000B018: 7FE60BF3
	v_pk_fma_f32 v[80:81], v[240:241], v[248:249], v[80:81]    // 00000000B01C: D3B04050 1D43F1F0
	v_pk_fma_f32 v[82:83], v[242:243], v[248:249], v[82:83]    // 00000000B024: D3B04052 1D4BF1F2
	s_waitcnt vmcnt(20)                                        // 00000000B02C: BF8C4F74
	v_mfma_i32_16x16x32_i8 v[240:243], a[144:145], v[208:209], 0// 00000000B030: D3D700F0 0A03A190
	buffer_load_dwordx4 a[48:51], v39, s[24:27], 0 offen       // 00000000B038: E05C1000 80863027
	v_mfma_i32_16x16x32_i8 v[240:243], a[146:147], v[210:211], v[240:243]// 00000000B040: D3D700F0 0FC3A592
	ds_write_b32 v12, v178 offset:3072                         // 00000000B048: D81A0C00 0000B20C
	ds_write_b32 v12, v179 offset:7168                         // 00000000B050: D81A1C00 0000B30C
	v_mfma_i32_16x16x32_i8 v[240:243], a[148:149], v[212:213], v[240:243]// 00000000B058: D3D700F0 0FC3A994
	v_mfma_i32_16x16x32_i8 v[240:243], a[150:151], v[214:215], v[240:243]// 00000000B060: D3D700F0 0FC3AD96
	ds_write_b32 v12, v180 offset:4096                         // 00000000B068: D81A1000 0000B40C
	ds_write_b32 v12, v181 offset:8192                         // 00000000B070: D81A2000 0000B50C
	v_mfma_i32_16x16x32_i8 v[240:243], a[152:153], v[216:217], v[240:243]// 00000000B078: D3D700F0 0FC3B198
	buffer_load_dwordx4 a[52:55], v39, s[24:27], 0 offen offset:1024// 00000000B080: E05C1400 80863427
	v_mfma_i32_16x16x32_i8 v[240:243], a[154:155], v[218:219], v[240:243]// 00000000B088: D3D700F0 0FC3B59A
	ds_write_b32 v12, v182 offset:5120                         // 00000000B090: D81A1400 0000B60C
	ds_write_b32 v12, v183 offset:9216                         // 00000000B098: D81A2400 0000B70C
	v_mfma_i32_16x16x32_i8 v[240:243], a[156:157], v[220:221], v[240:243]// 00000000B0A0: D3D700F0 0FC3B99C
	v_mfma_i32_16x16x32_i8 v[240:243], a[158:159], v[222:223], v[240:243]// 00000000B0A8: D3D700F0 0FC3BD9E
	v_cvt_f32_i32_e32 v244, v244                               // 00000000B0B0: 7FE80BF4
	v_cvt_f32_i32_e32 v245, v245                               // 00000000B0B4: 7FEA0BF5
	v_cvt_f32_i32_e32 v246, v246                               // 00000000B0B8: 7FEC0BF6
	v_cvt_f32_i32_e32 v247, v247                               // 00000000B0BC: 7FEE0BF7
	v_pk_fma_f32 v[84:85], v[244:245], v[250:251], v[84:85]    // 00000000B0C0: D3B04054 1D53F5F4
	v_pk_fma_f32 v[86:87], v[246:247], v[250:251], v[86:87]    // 00000000B0C8: D3B04056 1D5BF5F6
	v_mfma_i32_16x16x32_i8 v[244:247], a[144:145], v[224:225], 0// 00000000B0D0: D3D700F4 0A03C190
	buffer_load_dwordx4 a[56:59], v39, s[24:27], 0 offen offset:2048// 00000000B0D8: E05C1800 80863827
	v_mfma_i32_16x16x32_i8 v[244:247], a[146:147], v[226:227], v[244:247]// 00000000B0E0: D3D700F4 0FD3C592
	v_mfma_i32_16x16x32_i8 v[244:247], a[148:149], v[228:229], v[244:247]// 00000000B0E8: D3D700F4 0FD3C994
	v_mfma_i32_16x16x32_i8 v[244:247], a[150:151], v[230:231], v[244:247]// 00000000B0F0: D3D700F4 0FD3CD96
	s_waitcnt lgkmcnt(0)                                       // 00000000B0F8: BF8CC07F
	s_barrier                                                  // 00000000B0FC: BF8A0000
	v_mfma_i32_16x16x32_i8 v[244:247], a[152:153], v[232:233], v[244:247]// 00000000B100: D3D700F4 0FD3D198
	buffer_load_dwordx4 a[60:63], v39, s[24:27], 0 offen offset:3072// 00000000B108: E05C1C00 80863C27
	v_mfma_i32_16x16x32_i8 v[244:247], a[154:155], v[234:235], v[244:247]// 00000000B110: D3D700F4 0FD3D59A
	ds_read_b64 v[176:177], v13 offset:2048                    // 00000000B118: D8EC0800 B000000D
	ds_read_b64 v[178:179], v13 offset:2176                    // 00000000B120: D8EC0880 B200000D
	v_mfma_i32_16x16x32_i8 v[244:247], a[156:157], v[236:237], v[244:247]// 00000000B128: D3D700F4 0FD3D99C
	v_mfma_i32_16x16x32_i8 v[244:247], a[158:159], v[238:239], v[244:247]// 00000000B130: D3D700F4 0FD3DD9E
	ds_read_b64 v[180:181], v13 offset:3072                    // 00000000B138: D8EC0C00 B400000D
	ds_read_b64 v[182:183], v13 offset:3200                    // 00000000B140: D8EC0C80 B600000D
	v_cvt_f32_i32_e32 v240, v240                               // 00000000B148: 7FE00BF0
	v_cvt_f32_i32_e32 v241, v241                               // 00000000B14C: 7FE20BF1
	v_cvt_f32_i32_e32 v242, v242                               // 00000000B150: 7FE40BF2
	v_cvt_f32_i32_e32 v243, v243                               // 00000000B154: 7FE60BF3
	v_pk_fma_f32 v[88:89], v[240:241], v[248:249], v[88:89]    // 00000000B158: D3B04058 1D63F1F0
	v_pk_fma_f32 v[90:91], v[242:243], v[248:249], v[90:91]    // 00000000B160: D3B0405A 1D6BF1F2
	s_waitcnt vmcnt(20)                                        // 00000000B168: BF8C4F74
	v_mfma_i32_16x16x32_i8 v[240:243], a[160:161], v[208:209], 0// 00000000B16C: D3D700F0 0A03A1A0
	buffer_load_dwordx4 a[64:67], v40, s[24:27], 0 offen       // 00000000B174: E05C1000 80864028
	v_mfma_i32_16x16x32_i8 v[240:243], a[162:163], v[210:211], v[240:243]// 00000000B17C: D3D700F0 0FC3A5A2
	ds_read_b64 v[184:185], v13 offset:4096                    // 00000000B184: D8EC1000 B800000D
	ds_read_b64 v[186:187], v13 offset:4224                    // 00000000B18C: D8EC1080 BA00000D
	v_mfma_i32_16x16x32_i8 v[240:243], a[164:165], v[212:213], v[240:243]// 00000000B194: D3D700F0 0FC3A9A4
	v_mfma_i32_16x16x32_i8 v[240:243], a[166:167], v[214:215], v[240:243]// 00000000B19C: D3D700F0 0FC3ADA6
	ds_read_b64 v[188:189], v13 offset:5120                    // 00000000B1A4: D8EC1400 BC00000D
	ds_read_b64 v[190:191], v13 offset:5248                    // 00000000B1AC: D8EC1480 BE00000D
	v_mfma_i32_16x16x32_i8 v[240:243], a[168:169], v[216:217], v[240:243]// 00000000B1B4: D3D700F0 0FC3B1A8
	buffer_load_dwordx4 a[68:71], v40, s[24:27], 0 offen offset:1024// 00000000B1BC: E05C1400 80864428
	v_mfma_i32_16x16x32_i8 v[240:243], a[170:171], v[218:219], v[240:243]// 00000000B1C4: D3D700F0 0FC3B5AA
	ds_read_b64 v[192:193], v13 offset:6144                    // 00000000B1CC: D8EC1800 C000000D
	ds_read_b64 v[194:195], v13 offset:6272                    // 00000000B1D4: D8EC1880 C200000D
	v_mfma_i32_16x16x32_i8 v[240:243], a[172:173], v[220:221], v[240:243]// 00000000B1DC: D3D700F0 0FC3B9AC
	v_mfma_i32_16x16x32_i8 v[240:243], a[174:175], v[222:223], v[240:243]// 00000000B1E4: D3D700F0 0FC3BDAE
	ds_read_b64 v[196:197], v13 offset:7168                    // 00000000B1EC: D8EC1C00 C400000D
	ds_read_b64 v[198:199], v13 offset:7296                    // 00000000B1F4: D8EC1C80 C600000D
	v_cvt_f32_i32_e32 v244, v244                               // 00000000B1FC: 7FE80BF4
	v_cvt_f32_i32_e32 v245, v245                               // 00000000B200: 7FEA0BF5
	v_cvt_f32_i32_e32 v246, v246                               // 00000000B204: 7FEC0BF6
	v_cvt_f32_i32_e32 v247, v247                               // 00000000B208: 7FEE0BF7
	v_pk_fma_f32 v[92:93], v[244:245], v[250:251], v[92:93]    // 00000000B20C: D3B0405C 1D73F5F4
	v_pk_fma_f32 v[94:95], v[246:247], v[250:251], v[94:95]    // 00000000B214: D3B0405E 1D7BF5F6
	v_mfma_i32_16x16x32_i8 v[244:247], a[160:161], v[224:225], 0// 00000000B21C: D3D700F4 0A03C1A0
	buffer_load_dwordx4 a[72:75], v40, s[24:27], 0 offen offset:2048// 00000000B224: E05C1800 80864828
	v_mfma_i32_16x16x32_i8 v[244:247], a[162:163], v[226:227], v[244:247]// 00000000B22C: D3D700F4 0FD3C5A2
	ds_read_b64 v[200:201], v13 offset:8192                    // 00000000B234: D8EC2000 C800000D
	ds_read_b64 v[202:203], v13 offset:8320                    // 00000000B23C: D8EC2080 CA00000D
	v_mfma_i32_16x16x32_i8 v[244:247], a[164:165], v[228:229], v[244:247]// 00000000B244: D3D700F4 0FD3C9A4
	v_mfma_i32_16x16x32_i8 v[244:247], a[166:167], v[230:231], v[244:247]// 00000000B24C: D3D700F4 0FD3CDA6
	ds_read_b64 v[204:205], v13 offset:9216                    // 00000000B254: D8EC2400 CC00000D
	ds_read_b64 v[206:207], v13 offset:9344                    // 00000000B25C: D8EC2480 CE00000D
	v_mfma_i32_16x16x32_i8 v[244:247], a[168:169], v[232:233], v[244:247]// 00000000B264: D3D700F4 0FD3D1A8
	buffer_load_dwordx4 a[76:79], v40, s[24:27], 0 offen offset:3072// 00000000B26C: E05C1C00 80864C28
	v_mfma_i32_16x16x32_i8 v[244:247], a[170:171], v[234:235], v[244:247]// 00000000B274: D3D700F4 0FD3D5AA
	v_mfma_i32_16x16x32_i8 v[244:247], a[172:173], v[236:237], v[244:247]// 00000000B27C: D3D700F4 0FD3D9AC
	v_mfma_i32_16x16x32_i8 v[244:247], a[174:175], v[238:239], v[244:247]// 00000000B284: D3D700F4 0FD3DDAE
	v_cvt_f32_i32_e32 v240, v240                               // 00000000B28C: 7FE00BF0
	v_cvt_f32_i32_e32 v241, v241                               // 00000000B290: 7FE20BF1
	v_cvt_f32_i32_e32 v242, v242                               // 00000000B294: 7FE40BF2
	v_cvt_f32_i32_e32 v243, v243                               // 00000000B298: 7FE60BF3
	v_pk_fma_f32 v[96:97], v[240:241], v[248:249], v[96:97]    // 00000000B29C: D3B04060 1D83F1F0
	v_pk_fma_f32 v[98:99], v[242:243], v[248:249], v[98:99]    // 00000000B2A4: D3B04062 1D8BF1F2
	s_waitcnt vmcnt(20)                                        // 00000000B2AC: BF8C4F74
	v_mfma_i32_16x16x32_i8 v[240:243], a[176:177], v[208:209], 0// 00000000B2B0: D3D700F0 0A03A1B0
	buffer_load_dwordx4 a[80:83], v41, s[24:27], 0 offen       // 00000000B2B8: E05C1000 80865029
	v_mfma_i32_16x16x32_i8 v[240:243], a[178:179], v[210:211], v[240:243]// 00000000B2C0: D3D700F0 0FC3A5B2
	v_mfma_i32_16x16x32_i8 v[240:243], a[180:181], v[212:213], v[240:243]// 00000000B2C8: D3D700F0 0FC3A9B4
	v_mfma_i32_16x16x32_i8 v[240:243], a[182:183], v[214:215], v[240:243]// 00000000B2D0: D3D700F0 0FC3ADB6
	v_mfma_i32_16x16x32_i8 v[240:243], a[184:185], v[216:217], v[240:243]// 00000000B2D8: D3D700F0 0FC3B1B8
	buffer_load_dwordx4 a[84:87], v41, s[24:27], 0 offen offset:1024// 00000000B2E0: E05C1400 80865429
	v_mfma_i32_16x16x32_i8 v[240:243], a[186:187], v[218:219], v[240:243]// 00000000B2E8: D3D700F0 0FC3B5BA
	v_mfma_i32_16x16x32_i8 v[240:243], a[188:189], v[220:221], v[240:243]// 00000000B2F0: D3D700F0 0FC3B9BC
	v_mfma_i32_16x16x32_i8 v[240:243], a[190:191], v[222:223], v[240:243]// 00000000B2F8: D3D700F0 0FC3BDBE
	v_cvt_f32_i32_e32 v244, v244                               // 00000000B300: 7FE80BF4
	v_cvt_f32_i32_e32 v245, v245                               // 00000000B304: 7FEA0BF5
	v_cvt_f32_i32_e32 v246, v246                               // 00000000B308: 7FEC0BF6
	v_cvt_f32_i32_e32 v247, v247                               // 00000000B30C: 7FEE0BF7
	v_pk_fma_f32 v[100:101], v[244:245], v[250:251], v[100:101]// 00000000B310: D3B04064 1D93F5F4
	v_pk_fma_f32 v[102:103], v[246:247], v[250:251], v[102:103]// 00000000B318: D3B04066 1D9BF5F6
	v_mfma_i32_16x16x32_i8 v[244:247], a[176:177], v[224:225], 0// 00000000B320: D3D700F4 0A03C1B0
	buffer_load_dwordx4 a[88:91], v41, s[24:27], 0 offen offset:2048// 00000000B328: E05C1800 80865829
	v_mfma_i32_16x16x32_i8 v[244:247], a[178:179], v[226:227], v[244:247]// 00000000B330: D3D700F4 0FD3C5B2
	v_mfma_i32_16x16x32_i8 v[244:247], a[180:181], v[228:229], v[244:247]// 00000000B338: D3D700F4 0FD3C9B4
	v_mfma_i32_16x16x32_i8 v[244:247], a[182:183], v[230:231], v[244:247]// 00000000B340: D3D700F4 0FD3CDB6
	v_mfma_i32_16x16x32_i8 v[244:247], a[184:185], v[232:233], v[244:247]// 00000000B348: D3D700F4 0FD3D1B8
	buffer_load_dwordx4 a[92:95], v41, s[24:27], 0 offen offset:3072// 00000000B350: E05C1C00 80865C29
	v_mfma_i32_16x16x32_i8 v[244:247], a[186:187], v[234:235], v[244:247]// 00000000B358: D3D700F4 0FD3D5BA
	v_mfma_i32_16x16x32_i8 v[244:247], a[188:189], v[236:237], v[244:247]// 00000000B360: D3D700F4 0FD3D9BC
	v_mfma_i32_16x16x32_i8 v[244:247], a[190:191], v[238:239], v[244:247]// 00000000B368: D3D700F4 0FD3DDBE
	v_cvt_f32_i32_e32 v240, v240                               // 00000000B370: 7FE00BF0
	v_cvt_f32_i32_e32 v241, v241                               // 00000000B374: 7FE20BF1
	v_cvt_f32_i32_e32 v242, v242                               // 00000000B378: 7FE40BF2
	v_cvt_f32_i32_e32 v243, v243                               // 00000000B37C: 7FE60BF3
	v_pk_fma_f32 v[104:105], v[240:241], v[248:249], v[104:105]// 00000000B380: D3B04068 1DA3F1F0
	v_pk_fma_f32 v[106:107], v[242:243], v[248:249], v[106:107]// 00000000B388: D3B0406A 1DABF1F2
	v_cvt_f32_i32_e32 v244, v244                               // 00000000B390: 7FE80BF4
	v_cvt_f32_i32_e32 v245, v245                               // 00000000B394: 7FEA0BF5
	v_cvt_f32_i32_e32 v246, v246                               // 00000000B398: 7FEC0BF6
	v_cvt_f32_i32_e32 v247, v247                               // 00000000B39C: 7FEE0BF7
	v_pk_fma_f32 v[108:109], v[244:245], v[250:251], v[108:109]// 00000000B3A0: D3B0406C 1DB3F5F4
	v_pk_fma_f32 v[110:111], v[246:247], v[250:251], v[110:111]// 00000000B3A8: D3B0406E 1DBBF5F6
	s_add_u32 s60, 0x200, s80                                  // 00000000B3B0: 803C50FF 00000200
	s_cmp_lt_u32 s60, s81                                      // 00000000B3B8: BF0A513C
	s_cselect_b32 s57, s57, 0                                  // 00000000B3BC: 85398039
	s_cselect_b32 s91, s91, 0                                  // 00000000B3C0: 855B805B
	s_add_u32 s60, 0x200, s80                                  // 00000000B3C4: 803C50FF 00000200
	s_cmp_lt_u32 s60, s81                                      // 00000000B3CC: BF0A513C
	s_cselect_b32 s58, s58, 0                                  // 00000000B3D0: 853A803A
	s_add_u32 s20, s57, s20                                    // 00000000B3D4: 80141439
	s_addc_u32 s21, 0, s21                                     // 00000000B3D8: 82151580
	s_add_u32 s28, s91, s28                                    // 00000000B3DC: 801C1C5B
	s_addc_u32 s29, 0, s29                                     // 00000000B3E0: 821D1D80
	s_add_u32 s24, s58, s24                                    // 00000000B3E4: 8018183A
	s_addc_u32 s25, 0, s25                                     // 00000000B3E8: 82191980
	s_add_u32 s92, s90, s92                                    // 00000000B3EC: 805C5C5A
	s_addc_u32 s93, 0, s93                                     // 00000000B3F0: 825D5D80
	s_addk_i32 s80, 0x100                                      // 00000000B3F4: B7500100
	s_cmp_lt_i32 s80, s81                                      // 00000000B3F8: BF045150
	s_cbranch_scc0 label_2181                                  // 00000000B3FC: BF840001
	s_branch label_1858                                        // 00000000B400: BF82F6D7

000000000000b404 <label_2181>:
	s_mov_b32 s20, 0                                           // 00000000B404: BE940080
	s_cmp_lt_u32 s89, s66                                      // 00000000B408: BF0A4259
	s_cselect_b32 s60, 0, 1                                    // 00000000B40C: 853C8180
	s_lshl1_add_u32 s20, s20, s60                              // 00000000B410: 97143C14
	s_cmp_lt_u32 s88, s66                                      // 00000000B414: BF0A4258
	s_cselect_b32 s60, 0, 1                                    // 00000000B418: 853C8180
	s_lshl1_add_u32 s20, s20, s60                              // 00000000B41C: 97143C14
	s_cmp_lt_u32 s87, s66                                      // 00000000B420: BF0A4257
	s_cselect_b32 s60, 0, 1                                    // 00000000B424: 853C8180
	s_lshl1_add_u32 s20, s20, s60                              // 00000000B428: 97143C14
	s_cmp_lt_u32 s86, s66                                      // 00000000B42C: BF0A4256
	s_cselect_b32 s60, 0, 1                                    // 00000000B430: 853C8180
	s_lshl1_add_u32 s20, s20, s60                              // 00000000B434: 97143C14
	s_cmp_lt_u32 s85, s66                                      // 00000000B438: BF0A4255
	s_cselect_b32 s60, 0, 1                                    // 00000000B43C: 853C8180
	s_lshl1_add_u32 s20, s20, s60                              // 00000000B440: 97143C14
	s_cmp_lt_u32 s84, s66                                      // 00000000B444: BF0A4254
	s_cselect_b32 s60, 0, 1                                    // 00000000B448: 853C8180
	s_lshl1_add_u32 s20, s20, s60                              // 00000000B44C: 97143C14
	s_cmp_lt_u32 s83, s66                                      // 00000000B450: BF0A4253
	s_cselect_b32 s60, 0, 1                                    // 00000000B454: 853C8180
	s_lshl1_add_u32 s20, s20, s60                              // 00000000B458: 97143C14
	s_cmp_lt_u32 s82, s66                                      // 00000000B45C: BF0A4252
	s_cselect_b32 s60, 0, 1                                    // 00000000B460: 853C8180
	s_lshl1_add_u32 s20, s20, s60                              // 00000000B464: 97143C14
	v_mov_b32_e32 v54, 0xbfcc4231                              // 00000000B468: 7E6C02FF BFCC4231
	v_mov_b32_e32 v55, 0xbfcc4231                              // 00000000B470: 7E6E02FF BFCC4231
	v_mov_b32_e32 v51, 0xffff0000                              // 00000000B478: 7E6602FF FFFF0000
	v_mov_b32_e32 v52, 0x7fff0000                              // 00000000B480: 7E6802FF 7FFF0000
	v_mov_b32_e32 v53, 0x7fff                                  // 00000000B488: 7E6A02FF 00007FFF
	s_mul_i32 s60, s5, 16                                      // 00000000B490: 923C9005
	s_mul_i32 s60, s60, s70                                    // 00000000B494: 923C463C
	v_lshlrev_b32_e32 v46, 4, v0                               // 00000000B498: 245C0084
	v_add_u32_e32 v46, s60, v46                                // 00000000B49C: 685C5C3C
	s_mul_i32 s60, 64, s70                                     // 00000000B4A0: 923C46C0
	v_add_u32_e32 v47, s60, v46                                // 00000000B4A4: 685E5C3C
	v_add_u32_e32 v48, s60, v47                                // 00000000B4A8: 68605E3C
	v_add_u32_e32 v49, s60, v48                                // 00000000B4AC: 6862603C
	v_lshrrev_b32_e32 v42, 4, v0                               // 00000000B4B0: 20540084
	v_mul_i32_i24_e32 v3, 34, v42                              // 00000000B4B4: 0C0654A2
	v_and_b32_e32 v42, 15, v0                                  // 00000000B4B8: 2654008F
	v_mul_i32_i24_e32 v43, 2, v42                              // 00000000B4BC: 0C565482
	v_add_u32_e32 v3, v43, v3                                  // 00000000B4C0: 6806072B
	s_mul_i32 s60, s5, 0x88                                    // 00000000B4C4: 923CFF05 00000088
	v_add_u32_e32 v3, s60, v3                                  // 00000000B4CC: 6806063C
	v_lshlrev_b32_e32 v3, 2, v3                                // 00000000B4D0: 24060682
	v_lshrrev_b32_e32 v42, 1, v0                               // 00000000B4D4: 20540081
	v_mul_i32_i24_e32 v4, 34, v42                              // 00000000B4D8: 0C0854A2
	v_and_b32_e32 v43, 1, v0                                   // 00000000B4DC: 26560081
	v_add_u32_e32 v4, v43, v4                                  // 00000000B4E0: 6808092B
	s_mul_i32 s60, s5, 2                                       // 00000000B4E4: 923C8205
	v_add_u32_e32 v4, s60, v4                                  // 00000000B4E8: 6808083C
	v_lshlrev_b32_e32 v4, 2, v4                                // 00000000B4EC: 24080882
	v_mul_f32_dpp v128, v16, v128 row_newbcast:0 row_mask:0xf bank_mask:0xf// 00000000B4F0: 0B0100FA FF015010
	v_mul_f32_dpp v129, v16, v129 row_newbcast:1 row_mask:0xf bank_mask:0xf// 00000000B4F8: 0B0302FA FF015110
	v_mul_f32_dpp v130, v16, v130 row_newbcast:2 row_mask:0xf bank_mask:0xf// 00000000B500: 0B0504FA FF015210
	v_mul_f32_dpp v131, v16, v131 row_newbcast:3 row_mask:0xf bank_mask:0xf// 00000000B508: 0B0706FA FF015310
	v_mul_f32_dpp v132, v16, v132 row_newbcast:0 row_mask:0xf bank_mask:0xf// 00000000B510: 0B0908FA FF015010
	v_mul_f32_dpp v133, v16, v133 row_newbcast:1 row_mask:0xf bank_mask:0xf// 00000000B518: 0B0B0AFA FF015110
	v_mul_f32_dpp v134, v16, v134 row_newbcast:2 row_mask:0xf bank_mask:0xf// 00000000B520: 0B0D0CFA FF015210
	v_mul_f32_dpp v135, v16, v135 row_newbcast:3 row_mask:0xf bank_mask:0xf// 00000000B528: 0B0F0EFA FF015310
	v_mul_f32_dpp v136, v16, v136 row_newbcast:4 row_mask:0xf bank_mask:0xf// 00000000B530: 0B1110FA FF015410
	v_mul_f32_dpp v137, v16, v137 row_newbcast:5 row_mask:0xf bank_mask:0xf// 00000000B538: 0B1312FA FF015510
	v_mul_f32_dpp v138, v16, v138 row_newbcast:6 row_mask:0xf bank_mask:0xf// 00000000B540: 0B1514FA FF015610
	v_mul_f32_dpp v139, v16, v139 row_newbcast:7 row_mask:0xf bank_mask:0xf// 00000000B548: 0B1716FA FF015710
	v_mul_f32_dpp v140, v16, v140 row_newbcast:4 row_mask:0xf bank_mask:0xf// 00000000B550: 0B1918FA FF015410
	v_mul_f32_dpp v141, v16, v141 row_newbcast:5 row_mask:0xf bank_mask:0xf// 00000000B558: 0B1B1AFA FF015510
	v_mul_f32_dpp v142, v16, v142 row_newbcast:6 row_mask:0xf bank_mask:0xf// 00000000B560: 0B1D1CFA FF015610
	v_mul_f32_dpp v143, v16, v143 row_newbcast:7 row_mask:0xf bank_mask:0xf// 00000000B568: 0B1F1EFA FF015710
	v_mul_f32_dpp v144, v16, v144 row_newbcast:8 row_mask:0xf bank_mask:0xf// 00000000B570: 0B2120FA FF015810
	v_mul_f32_dpp v145, v16, v145 row_newbcast:9 row_mask:0xf bank_mask:0xf// 00000000B578: 0B2322FA FF015910
	v_mul_f32_dpp v146, v16, v146 row_newbcast:10 row_mask:0xf bank_mask:0xf// 00000000B580: 0B2524FA FF015A10
	v_mul_f32_dpp v147, v16, v147 row_newbcast:11 row_mask:0xf bank_mask:0xf// 00000000B588: 0B2726FA FF015B10
	v_mul_f32_dpp v148, v16, v148 row_newbcast:8 row_mask:0xf bank_mask:0xf// 00000000B590: 0B2928FA FF015810
	v_mul_f32_dpp v149, v16, v149 row_newbcast:9 row_mask:0xf bank_mask:0xf// 00000000B598: 0B2B2AFA FF015910
	v_mul_f32_dpp v150, v16, v150 row_newbcast:10 row_mask:0xf bank_mask:0xf// 00000000B5A0: 0B2D2CFA FF015A10
	v_mul_f32_dpp v151, v16, v151 row_newbcast:11 row_mask:0xf bank_mask:0xf// 00000000B5A8: 0B2F2EFA FF015B10
	v_mul_f32_dpp v152, v16, v152 row_newbcast:12 row_mask:0xf bank_mask:0xf// 00000000B5B0: 0B3130FA FF015C10
	v_mul_f32_dpp v153, v16, v153 row_newbcast:13 row_mask:0xf bank_mask:0xf// 00000000B5B8: 0B3332FA FF015D10
	v_mul_f32_dpp v154, v16, v154 row_newbcast:14 row_mask:0xf bank_mask:0xf// 00000000B5C0: 0B3534FA FF015E10
	v_mul_f32_dpp v155, v16, v155 row_newbcast:15 row_mask:0xf bank_mask:0xf// 00000000B5C8: 0B3736FA FF015F10
	v_mul_f32_dpp v156, v16, v156 row_newbcast:12 row_mask:0xf bank_mask:0xf// 00000000B5D0: 0B3938FA FF015C10
	v_mul_f32_dpp v157, v16, v157 row_newbcast:13 row_mask:0xf bank_mask:0xf// 00000000B5D8: 0B3B3AFA FF015D10
	v_mul_f32_dpp v158, v16, v158 row_newbcast:14 row_mask:0xf bank_mask:0xf// 00000000B5E0: 0B3D3CFA FF015E10
	v_mul_f32_dpp v159, v16, v159 row_newbcast:15 row_mask:0xf bank_mask:0xf// 00000000B5E8: 0B3F3EFA FF015F10
	v_mul_f32_dpp v160, v17, v160 row_newbcast:0 row_mask:0xf bank_mask:0xf// 00000000B5F0: 0B4140FA FF015011
	v_mul_f32_dpp v161, v17, v161 row_newbcast:1 row_mask:0xf bank_mask:0xf// 00000000B5F8: 0B4342FA FF015111
	v_mul_f32_dpp v162, v17, v162 row_newbcast:2 row_mask:0xf bank_mask:0xf// 00000000B600: 0B4544FA FF015211
	v_mul_f32_dpp v163, v17, v163 row_newbcast:3 row_mask:0xf bank_mask:0xf// 00000000B608: 0B4746FA FF015311
	v_mul_f32_dpp v164, v17, v164 row_newbcast:0 row_mask:0xf bank_mask:0xf// 00000000B610: 0B4948FA FF015011
	v_mul_f32_dpp v165, v17, v165 row_newbcast:1 row_mask:0xf bank_mask:0xf// 00000000B618: 0B4B4AFA FF015111
	v_mul_f32_dpp v166, v17, v166 row_newbcast:2 row_mask:0xf bank_mask:0xf// 00000000B620: 0B4D4CFA FF015211
	v_mul_f32_dpp v167, v17, v167 row_newbcast:3 row_mask:0xf bank_mask:0xf// 00000000B628: 0B4F4EFA FF015311
	v_mul_f32_dpp v168, v17, v168 row_newbcast:4 row_mask:0xf bank_mask:0xf// 00000000B630: 0B5150FA FF015411
	v_mul_f32_dpp v169, v17, v169 row_newbcast:5 row_mask:0xf bank_mask:0xf// 00000000B638: 0B5352FA FF015511
	v_mul_f32_dpp v170, v17, v170 row_newbcast:6 row_mask:0xf bank_mask:0xf// 00000000B640: 0B5554FA FF015611
	v_mul_f32_dpp v171, v17, v171 row_newbcast:7 row_mask:0xf bank_mask:0xf// 00000000B648: 0B5756FA FF015711
	v_mul_f32_dpp v172, v17, v172 row_newbcast:4 row_mask:0xf bank_mask:0xf// 00000000B650: 0B5958FA FF015411
	v_mul_f32_dpp v173, v17, v173 row_newbcast:5 row_mask:0xf bank_mask:0xf// 00000000B658: 0B5B5AFA FF015511
	v_mul_f32_dpp v174, v17, v174 row_newbcast:6 row_mask:0xf bank_mask:0xf// 00000000B660: 0B5D5CFA FF015611
	v_mul_f32_dpp v175, v17, v175 row_newbcast:7 row_mask:0xf bank_mask:0xf// 00000000B668: 0B5F5EFA FF015711
	v_mul_f32_dpp v64, v8, v64 row_newbcast:0 row_mask:0xf bank_mask:0xf// 00000000B670: 0A8080FA FF015008
	v_mul_f32_dpp v65, v8, v65 row_newbcast:1 row_mask:0xf bank_mask:0xf// 00000000B678: 0A8282FA FF015108
	v_mul_f32_dpp v66, v8, v66 row_newbcast:2 row_mask:0xf bank_mask:0xf// 00000000B680: 0A8484FA FF015208
	v_mul_f32_dpp v67, v8, v67 row_newbcast:3 row_mask:0xf bank_mask:0xf// 00000000B688: 0A8686FA FF015308
	v_mul_f32_dpp v68, v8, v68 row_newbcast:0 row_mask:0xf bank_mask:0xf// 00000000B690: 0A8888FA FF015008
	v_mul_f32_dpp v69, v8, v69 row_newbcast:1 row_mask:0xf bank_mask:0xf// 00000000B698: 0A8A8AFA FF015108
	v_mul_f32_dpp v70, v8, v70 row_newbcast:2 row_mask:0xf bank_mask:0xf// 00000000B6A0: 0A8C8CFA FF015208
	v_mul_f32_dpp v71, v8, v71 row_newbcast:3 row_mask:0xf bank_mask:0xf// 00000000B6A8: 0A8E8EFA FF015308
	v_mul_f32_dpp v72, v8, v72 row_newbcast:4 row_mask:0xf bank_mask:0xf// 00000000B6B0: 0A9090FA FF015408
	v_mul_f32_dpp v73, v8, v73 row_newbcast:5 row_mask:0xf bank_mask:0xf// 00000000B6B8: 0A9292FA FF015508
	v_mul_f32_dpp v74, v8, v74 row_newbcast:6 row_mask:0xf bank_mask:0xf// 00000000B6C0: 0A9494FA FF015608
	v_mul_f32_dpp v75, v8, v75 row_newbcast:7 row_mask:0xf bank_mask:0xf// 00000000B6C8: 0A9696FA FF015708
	v_mul_f32_dpp v76, v8, v76 row_newbcast:4 row_mask:0xf bank_mask:0xf// 00000000B6D0: 0A9898FA FF015408
	v_mul_f32_dpp v77, v8, v77 row_newbcast:5 row_mask:0xf bank_mask:0xf// 00000000B6D8: 0A9A9AFA FF015508
	v_mul_f32_dpp v78, v8, v78 row_newbcast:6 row_mask:0xf bank_mask:0xf// 00000000B6E0: 0A9C9CFA FF015608
	v_mul_f32_dpp v79, v8, v79 row_newbcast:7 row_mask:0xf bank_mask:0xf// 00000000B6E8: 0A9E9EFA FF015708
	v_mul_f32_dpp v80, v8, v80 row_newbcast:8 row_mask:0xf bank_mask:0xf// 00000000B6F0: 0AA0A0FA FF015808
	v_mul_f32_dpp v81, v8, v81 row_newbcast:9 row_mask:0xf bank_mask:0xf// 00000000B6F8: 0AA2A2FA FF015908
	v_mul_f32_dpp v82, v8, v82 row_newbcast:10 row_mask:0xf bank_mask:0xf// 00000000B700: 0AA4A4FA FF015A08
	v_mul_f32_dpp v83, v8, v83 row_newbcast:11 row_mask:0xf bank_mask:0xf// 00000000B708: 0AA6A6FA FF015B08
	v_mul_f32_dpp v84, v8, v84 row_newbcast:8 row_mask:0xf bank_mask:0xf// 00000000B710: 0AA8A8FA FF015808
	v_mul_f32_dpp v85, v8, v85 row_newbcast:9 row_mask:0xf bank_mask:0xf// 00000000B718: 0AAAAAFA FF015908
	v_mul_f32_dpp v86, v8, v86 row_newbcast:10 row_mask:0xf bank_mask:0xf// 00000000B720: 0AACACFA FF015A08
	v_mul_f32_dpp v87, v8, v87 row_newbcast:11 row_mask:0xf bank_mask:0xf// 00000000B728: 0AAEAEFA FF015B08
	v_mul_f32_dpp v88, v8, v88 row_newbcast:12 row_mask:0xf bank_mask:0xf// 00000000B730: 0AB0B0FA FF015C08
	v_mul_f32_dpp v89, v8, v89 row_newbcast:13 row_mask:0xf bank_mask:0xf// 00000000B738: 0AB2B2FA FF015D08
	v_mul_f32_dpp v90, v8, v90 row_newbcast:14 row_mask:0xf bank_mask:0xf// 00000000B740: 0AB4B4FA FF015E08
	v_mul_f32_dpp v91, v8, v91 row_newbcast:15 row_mask:0xf bank_mask:0xf// 00000000B748: 0AB6B6FA FF015F08
	v_mul_f32_dpp v92, v8, v92 row_newbcast:12 row_mask:0xf bank_mask:0xf// 00000000B750: 0AB8B8FA FF015C08
	v_mul_f32_dpp v93, v8, v93 row_newbcast:13 row_mask:0xf bank_mask:0xf// 00000000B758: 0ABABAFA FF015D08
	v_mul_f32_dpp v94, v8, v94 row_newbcast:14 row_mask:0xf bank_mask:0xf// 00000000B760: 0ABCBCFA FF015E08
	v_mul_f32_dpp v95, v8, v95 row_newbcast:15 row_mask:0xf bank_mask:0xf// 00000000B768: 0ABEBEFA FF015F08
	v_mul_f32_dpp v96, v9, v96 row_newbcast:0 row_mask:0xf bank_mask:0xf// 00000000B770: 0AC0C0FA FF015009
	v_mul_f32_dpp v97, v9, v97 row_newbcast:1 row_mask:0xf bank_mask:0xf// 00000000B778: 0AC2C2FA FF015109
	v_mul_f32_dpp v98, v9, v98 row_newbcast:2 row_mask:0xf bank_mask:0xf// 00000000B780: 0AC4C4FA FF015209
	v_mul_f32_dpp v99, v9, v99 row_newbcast:3 row_mask:0xf bank_mask:0xf// 00000000B788: 0AC6C6FA FF015309
	v_mul_f32_dpp v100, v9, v100 row_newbcast:0 row_mask:0xf bank_mask:0xf// 00000000B790: 0AC8C8FA FF015009
	v_mul_f32_dpp v101, v9, v101 row_newbcast:1 row_mask:0xf bank_mask:0xf// 00000000B798: 0ACACAFA FF015109
	v_mul_f32_dpp v102, v9, v102 row_newbcast:2 row_mask:0xf bank_mask:0xf// 00000000B7A0: 0ACCCCFA FF015209
	v_mul_f32_dpp v103, v9, v103 row_newbcast:3 row_mask:0xf bank_mask:0xf// 00000000B7A8: 0ACECEFA FF015309
	v_mul_f32_dpp v104, v9, v104 row_newbcast:4 row_mask:0xf bank_mask:0xf// 00000000B7B0: 0AD0D0FA FF015409
	v_mul_f32_dpp v105, v9, v105 row_newbcast:5 row_mask:0xf bank_mask:0xf// 00000000B7B8: 0AD2D2FA FF015509
	v_mul_f32_dpp v106, v9, v106 row_newbcast:6 row_mask:0xf bank_mask:0xf// 00000000B7C0: 0AD4D4FA FF015609
	v_mul_f32_dpp v107, v9, v107 row_newbcast:7 row_mask:0xf bank_mask:0xf// 00000000B7C8: 0AD6D6FA FF015709
	v_mul_f32_dpp v108, v9, v108 row_newbcast:4 row_mask:0xf bank_mask:0xf// 00000000B7D0: 0AD8D8FA FF015409
	v_mul_f32_dpp v109, v9, v109 row_newbcast:5 row_mask:0xf bank_mask:0xf// 00000000B7D8: 0ADADAFA FF015509
	v_mul_f32_dpp v110, v9, v110 row_newbcast:6 row_mask:0xf bank_mask:0xf// 00000000B7E0: 0ADCDCFA FF015609
	v_mul_f32_dpp v111, v9, v111 row_newbcast:7 row_mask:0xf bank_mask:0xf// 00000000B7E8: 0ADEDEFA FF015709
	s_waitcnt vmcnt(20)                                        // 00000000B7F0: BF8C4F74
	buffer_load_dwordx4 a[0:3], v46, s[12:15], 0 offen         // 00000000B7F4: E05C1000 8083002E
	v_mul_f32_e64 v42, -v128, s6                               // 00000000B7FC: D105002A 20000D80
	v_mul_f32_e64 v43, -v129, s6                               // 00000000B804: D105002B 20000D81
	v_mul_f32_e64 v44, -v130, s6                               // 00000000B80C: D105002C 20000D82
	v_mul_f32_e64 v45, -v131, s6                               // 00000000B814: D105002D 20000D83
	v_exp_f32_e32 v42, v42                                     // 00000000B81C: 7E54412A
	v_exp_f32_e32 v43, v43                                     // 00000000B820: 7E56412B
	v_exp_f32_e32 v44, v44                                     // 00000000B824: 7E58412C
	v_exp_f32_e32 v45, v45                                     // 00000000B828: 7E5A412D
	buffer_load_dwordx4 a[4:7], v47, s[12:15], 0 offen         // 00000000B82C: E05C1000 8083042F
	v_add_f32_e64 v42, v42, 1.0                                // 00000000B834: D101002A 0001E52A
	v_add_f32_e64 v43, v43, 1.0                                // 00000000B83C: D101002B 0001E52B
	v_add_f32_e64 v44, v44, 1.0                                // 00000000B844: D101002C 0001E52C
	v_add_f32_e64 v45, v45, 1.0                                // 00000000B84C: D101002D 0001E52D
	v_rcp_f32_e32 v42, v42                                     // 00000000B854: 7E54452A
	v_rcp_f32_e32 v43, v43                                     // 00000000B858: 7E56452B
	v_rcp_f32_e32 v44, v44                                     // 00000000B85C: 7E58452C
	v_rcp_f32_e32 v45, v45                                     // 00000000B860: 7E5A452D
	v_pk_mul_f32 v[128:129], v[128:129], v[42:43]              // 00000000B864: D3B14080 18025580
	v_pk_mul_f32 v[130:131], v[130:131], v[44:45]              // 00000000B86C: D3B14082 18025982
	v_pk_mul_f32 v[128:129], v[128:129], v[64:65]              // 00000000B874: D3B14080 18028180
	v_pk_mul_f32 v[130:131], v[130:131], v[66:67]              // 00000000B87C: D3B14082 18028582
	buffer_load_dwordx4 a[8:11], v48, s[12:15], 0 offen        // 00000000B884: E05C1000 80830830
	v_mul_f32_e64 v42, -v132, s6                               // 00000000B88C: D105002A 20000D84
	v_mul_f32_e64 v43, -v133, s6                               // 00000000B894: D105002B 20000D85
	v_mul_f32_e64 v44, -v134, s6                               // 00000000B89C: D105002C 20000D86
	v_mul_f32_e64 v45, -v135, s6                               // 00000000B8A4: D105002D 20000D87
	v_exp_f32_e32 v42, v42                                     // 00000000B8AC: 7E54412A
	v_exp_f32_e32 v43, v43                                     // 00000000B8B0: 7E56412B
	v_exp_f32_e32 v44, v44                                     // 00000000B8B4: 7E58412C
	v_exp_f32_e32 v45, v45                                     // 00000000B8B8: 7E5A412D
	buffer_load_dwordx4 a[12:15], v49, s[12:15], 0 offen       // 00000000B8BC: E05C1000 80830C31
	s_add_u32 s12, s78, s12                                    // 00000000B8C4: 800C0C4E
	s_addc_u32 s13, 0, s13                                     // 00000000B8C8: 820D0D80
	v_add_f32_e64 v42, v42, 1.0                                // 00000000B8CC: D101002A 0001E52A
	v_add_f32_e64 v43, v43, 1.0                                // 00000000B8D4: D101002B 0001E52B
	v_add_f32_e64 v44, v44, 1.0                                // 00000000B8DC: D101002C 0001E52C
	v_add_f32_e64 v45, v45, 1.0                                // 00000000B8E4: D101002D 0001E52D
	v_rcp_f32_e32 v42, v42                                     // 00000000B8EC: 7E54452A
	v_rcp_f32_e32 v43, v43                                     // 00000000B8F0: 7E56452B
	v_rcp_f32_e32 v44, v44                                     // 00000000B8F4: 7E58452C
	v_rcp_f32_e32 v45, v45                                     // 00000000B8F8: 7E5A452D
	v_pk_mul_f32 v[132:133], v[132:133], v[42:43]              // 00000000B8FC: D3B14084 18025584
	v_pk_mul_f32 v[134:135], v[134:135], v[44:45]              // 00000000B904: D3B14086 18025986
	v_pk_mul_f32 v[132:133], v[132:133], v[68:69]              // 00000000B90C: D3B14084 18028984
	v_pk_mul_f32 v[134:135], v[134:135], v[70:71]              // 00000000B914: D3B14086 18028D86
	s_waitcnt vmcnt(20)                                        // 00000000B91C: BF8C4F74
	buffer_load_dwordx4 a[16:19], v46, s[12:15], 0 offen       // 00000000B920: E05C1000 8083102E
	v_mul_f32_e64 v42, -v136, s6                               // 00000000B928: D105002A 20000D88
	v_mul_f32_e64 v43, -v137, s6                               // 00000000B930: D105002B 20000D89
	v_mul_f32_e64 v44, -v138, s6                               // 00000000B938: D105002C 20000D8A
	v_mul_f32_e64 v45, -v139, s6                               // 00000000B940: D105002D 20000D8B
	v_exp_f32_e32 v42, v42                                     // 00000000B948: 7E54412A
	v_exp_f32_e32 v43, v43                                     // 00000000B94C: 7E56412B
	v_exp_f32_e32 v44, v44                                     // 00000000B950: 7E58412C
	v_exp_f32_e32 v45, v45                                     // 00000000B954: 7E5A412D
	buffer_load_dwordx4 a[20:23], v47, s[12:15], 0 offen       // 00000000B958: E05C1000 8083142F
	v_add_f32_e64 v42, v42, 1.0                                // 00000000B960: D101002A 0001E52A
	v_add_f32_e64 v43, v43, 1.0                                // 00000000B968: D101002B 0001E52B
	v_add_f32_e64 v44, v44, 1.0                                // 00000000B970: D101002C 0001E52C
	v_add_f32_e64 v45, v45, 1.0                                // 00000000B978: D101002D 0001E52D
	v_rcp_f32_e32 v42, v42                                     // 00000000B980: 7E54452A
	v_rcp_f32_e32 v43, v43                                     // 00000000B984: 7E56452B
	v_rcp_f32_e32 v44, v44                                     // 00000000B988: 7E58452C
	v_rcp_f32_e32 v45, v45                                     // 00000000B98C: 7E5A452D
	v_pk_mul_f32 v[136:137], v[136:137], v[42:43]              // 00000000B990: D3B14088 18025588
	v_pk_mul_f32 v[138:139], v[138:139], v[44:45]              // 00000000B998: D3B1408A 1802598A
	v_pk_mul_f32 v[136:137], v[136:137], v[72:73]              // 00000000B9A0: D3B14088 18029188
	v_pk_mul_f32 v[138:139], v[138:139], v[74:75]              // 00000000B9A8: D3B1408A 1802958A
	buffer_load_dwordx4 a[24:27], v48, s[12:15], 0 offen       // 00000000B9B0: E05C1000 80831830
	v_mul_f32_e64 v42, -v140, s6                               // 00000000B9B8: D105002A 20000D8C
	v_mul_f32_e64 v43, -v141, s6                               // 00000000B9C0: D105002B 20000D8D
	v_mul_f32_e64 v44, -v142, s6                               // 00000000B9C8: D105002C 20000D8E
	v_mul_f32_e64 v45, -v143, s6                               // 00000000B9D0: D105002D 20000D8F
	v_exp_f32_e32 v42, v42                                     // 00000000B9D8: 7E54412A
	v_exp_f32_e32 v43, v43                                     // 00000000B9DC: 7E56412B
	v_exp_f32_e32 v44, v44                                     // 00000000B9E0: 7E58412C
	v_exp_f32_e32 v45, v45                                     // 00000000B9E4: 7E5A412D
	buffer_load_dwordx4 a[28:31], v49, s[12:15], 0 offen       // 00000000B9E8: E05C1000 80831C31
	s_add_u32 s12, s78, s12                                    // 00000000B9F0: 800C0C4E
	s_addc_u32 s13, 0, s13                                     // 00000000B9F4: 820D0D80
	v_add_f32_e64 v42, v42, 1.0                                // 00000000B9F8: D101002A 0001E52A
	v_add_f32_e64 v43, v43, 1.0                                // 00000000BA00: D101002B 0001E52B
	v_add_f32_e64 v44, v44, 1.0                                // 00000000BA08: D101002C 0001E52C
	v_add_f32_e64 v45, v45, 1.0                                // 00000000BA10: D101002D 0001E52D
	v_rcp_f32_e32 v42, v42                                     // 00000000BA18: 7E54452A
	v_rcp_f32_e32 v43, v43                                     // 00000000BA1C: 7E56452B
	v_rcp_f32_e32 v44, v44                                     // 00000000BA20: 7E58452C
	v_rcp_f32_e32 v45, v45                                     // 00000000BA24: 7E5A452D
	v_pk_mul_f32 v[140:141], v[140:141], v[42:43]              // 00000000BA28: D3B1408C 1802558C
	v_pk_mul_f32 v[142:143], v[142:143], v[44:45]              // 00000000BA30: D3B1408E 1802598E
	v_pk_mul_f32 v[140:141], v[140:141], v[76:77]              // 00000000BA38: D3B1408C 1802998C
	v_pk_mul_f32 v[142:143], v[142:143], v[78:79]              // 00000000BA40: D3B1408E 18029D8E
	s_waitcnt vmcnt(20)                                        // 00000000BA48: BF8C4F74
	buffer_load_dwordx4 a[32:35], v46, s[12:15], 0 offen       // 00000000BA4C: E05C1000 8083202E
	v_mul_f32_e64 v42, -v144, s6                               // 00000000BA54: D105002A 20000D90
	v_mul_f32_e64 v43, -v145, s6                               // 00000000BA5C: D105002B 20000D91
	v_mul_f32_e64 v44, -v146, s6                               // 00000000BA64: D105002C 20000D92
	v_mul_f32_e64 v45, -v147, s6                               // 00000000BA6C: D105002D 20000D93
	v_exp_f32_e32 v42, v42                                     // 00000000BA74: 7E54412A
	v_exp_f32_e32 v43, v43                                     // 00000000BA78: 7E56412B
	v_exp_f32_e32 v44, v44                                     // 00000000BA7C: 7E58412C
	v_exp_f32_e32 v45, v45                                     // 00000000BA80: 7E5A412D
	buffer_load_dwordx4 a[36:39], v47, s[12:15], 0 offen       // 00000000BA84: E05C1000 8083242F
	v_add_f32_e64 v42, v42, 1.0                                // 00000000BA8C: D101002A 0001E52A
	v_add_f32_e64 v43, v43, 1.0                                // 00000000BA94: D101002B 0001E52B
	v_add_f32_e64 v44, v44, 1.0                                // 00000000BA9C: D101002C 0001E52C
	v_add_f32_e64 v45, v45, 1.0                                // 00000000BAA4: D101002D 0001E52D
	v_rcp_f32_e32 v42, v42                                     // 00000000BAAC: 7E54452A
	v_rcp_f32_e32 v43, v43                                     // 00000000BAB0: 7E56452B
	v_rcp_f32_e32 v44, v44                                     // 00000000BAB4: 7E58452C
	v_rcp_f32_e32 v45, v45                                     // 00000000BAB8: 7E5A452D
	v_pk_mul_f32 v[144:145], v[144:145], v[42:43]              // 00000000BABC: D3B14090 18025590
	v_pk_mul_f32 v[146:147], v[146:147], v[44:45]              // 00000000BAC4: D3B14092 18025992
	v_pk_mul_f32 v[144:145], v[144:145], v[80:81]              // 00000000BACC: D3B14090 1802A190
	v_pk_mul_f32 v[146:147], v[146:147], v[82:83]              // 00000000BAD4: D3B14092 1802A592
	buffer_load_dwordx4 a[40:43], v48, s[12:15], 0 offen       // 00000000BADC: E05C1000 80832830
	v_mul_f32_e64 v42, -v148, s6                               // 00000000BAE4: D105002A 20000D94
	v_mul_f32_e64 v43, -v149, s6                               // 00000000BAEC: D105002B 20000D95
	v_mul_f32_e64 v44, -v150, s6                               // 00000000BAF4: D105002C 20000D96
	v_mul_f32_e64 v45, -v151, s6                               // 00000000BAFC: D105002D 20000D97
	v_exp_f32_e32 v42, v42                                     // 00000000BB04: 7E54412A
	v_exp_f32_e32 v43, v43                                     // 00000000BB08: 7E56412B
	v_exp_f32_e32 v44, v44                                     // 00000000BB0C: 7E58412C
	v_exp_f32_e32 v45, v45                                     // 00000000BB10: 7E5A412D
	buffer_load_dwordx4 a[44:47], v49, s[12:15], 0 offen       // 00000000BB14: E05C1000 80832C31
	s_add_u32 s12, s78, s12                                    // 00000000BB1C: 800C0C4E
	s_addc_u32 s13, 0, s13                                     // 00000000BB20: 820D0D80
	v_add_f32_e64 v42, v42, 1.0                                // 00000000BB24: D101002A 0001E52A
	v_add_f32_e64 v43, v43, 1.0                                // 00000000BB2C: D101002B 0001E52B
	v_add_f32_e64 v44, v44, 1.0                                // 00000000BB34: D101002C 0001E52C
	v_add_f32_e64 v45, v45, 1.0                                // 00000000BB3C: D101002D 0001E52D
	v_rcp_f32_e32 v42, v42                                     // 00000000BB44: 7E54452A
	v_rcp_f32_e32 v43, v43                                     // 00000000BB48: 7E56452B
	v_rcp_f32_e32 v44, v44                                     // 00000000BB4C: 7E58452C
	v_rcp_f32_e32 v45, v45                                     // 00000000BB50: 7E5A452D
	v_pk_mul_f32 v[148:149], v[148:149], v[42:43]              // 00000000BB54: D3B14094 18025594
	v_pk_mul_f32 v[150:151], v[150:151], v[44:45]              // 00000000BB5C: D3B14096 18025996
	v_pk_mul_f32 v[148:149], v[148:149], v[84:85]              // 00000000BB64: D3B14094 1802A994
	v_pk_mul_f32 v[150:151], v[150:151], v[86:87]              // 00000000BB6C: D3B14096 1802AD96
	s_waitcnt vmcnt(20)                                        // 00000000BB74: BF8C4F74
	buffer_load_dwordx4 a[48:51], v46, s[12:15], 0 offen       // 00000000BB78: E05C1000 8083302E
	v_mul_f32_e64 v42, -v152, s6                               // 00000000BB80: D105002A 20000D98
	v_mul_f32_e64 v43, -v153, s6                               // 00000000BB88: D105002B 20000D99
	v_mul_f32_e64 v44, -v154, s6                               // 00000000BB90: D105002C 20000D9A
	v_mul_f32_e64 v45, -v155, s6                               // 00000000BB98: D105002D 20000D9B
	v_exp_f32_e32 v42, v42                                     // 00000000BBA0: 7E54412A
	v_exp_f32_e32 v43, v43                                     // 00000000BBA4: 7E56412B
	v_exp_f32_e32 v44, v44                                     // 00000000BBA8: 7E58412C
	v_exp_f32_e32 v45, v45                                     // 00000000BBAC: 7E5A412D
	buffer_load_dwordx4 a[52:55], v47, s[12:15], 0 offen       // 00000000BBB0: E05C1000 8083342F
	v_add_f32_e64 v42, v42, 1.0                                // 00000000BBB8: D101002A 0001E52A
	v_add_f32_e64 v43, v43, 1.0                                // 00000000BBC0: D101002B 0001E52B
	v_add_f32_e64 v44, v44, 1.0                                // 00000000BBC8: D101002C 0001E52C
	v_add_f32_e64 v45, v45, 1.0                                // 00000000BBD0: D101002D 0001E52D
	v_rcp_f32_e32 v42, v42                                     // 00000000BBD8: 7E54452A
	v_rcp_f32_e32 v43, v43                                     // 00000000BBDC: 7E56452B
	v_rcp_f32_e32 v44, v44                                     // 00000000BBE0: 7E58452C
	v_rcp_f32_e32 v45, v45                                     // 00000000BBE4: 7E5A452D
	v_pk_mul_f32 v[152:153], v[152:153], v[42:43]              // 00000000BBE8: D3B14098 18025598
	v_pk_mul_f32 v[154:155], v[154:155], v[44:45]              // 00000000BBF0: D3B1409A 1802599A
	v_pk_mul_f32 v[152:153], v[152:153], v[88:89]              // 00000000BBF8: D3B14098 1802B198
	v_pk_mul_f32 v[154:155], v[154:155], v[90:91]              // 00000000BC00: D3B1409A 1802B59A
	buffer_load_dwordx4 a[56:59], v48, s[12:15], 0 offen       // 00000000BC08: E05C1000 80833830
	v_mul_f32_e64 v42, -v156, s6                               // 00000000BC10: D105002A 20000D9C
	v_mul_f32_e64 v43, -v157, s6                               // 00000000BC18: D105002B 20000D9D
	v_mul_f32_e64 v44, -v158, s6                               // 00000000BC20: D105002C 20000D9E
	v_mul_f32_e64 v45, -v159, s6                               // 00000000BC28: D105002D 20000D9F
	v_exp_f32_e32 v42, v42                                     // 00000000BC30: 7E54412A
	v_exp_f32_e32 v43, v43                                     // 00000000BC34: 7E56412B
	v_exp_f32_e32 v44, v44                                     // 00000000BC38: 7E58412C
	v_exp_f32_e32 v45, v45                                     // 00000000BC3C: 7E5A412D
	buffer_load_dwordx4 a[60:63], v49, s[12:15], 0 offen       // 00000000BC40: E05C1000 80833C31
	s_add_u32 s12, s78, s12                                    // 00000000BC48: 800C0C4E
	s_addc_u32 s13, 0, s13                                     // 00000000BC4C: 820D0D80
	v_add_f32_e64 v42, v42, 1.0                                // 00000000BC50: D101002A 0001E52A
	v_add_f32_e64 v43, v43, 1.0                                // 00000000BC58: D101002B 0001E52B
	v_add_f32_e64 v44, v44, 1.0                                // 00000000BC60: D101002C 0001E52C
	v_add_f32_e64 v45, v45, 1.0                                // 00000000BC68: D101002D 0001E52D
	v_rcp_f32_e32 v42, v42                                     // 00000000BC70: 7E54452A
	v_rcp_f32_e32 v43, v43                                     // 00000000BC74: 7E56452B
	v_rcp_f32_e32 v44, v44                                     // 00000000BC78: 7E58452C
	v_rcp_f32_e32 v45, v45                                     // 00000000BC7C: 7E5A452D
	v_pk_mul_f32 v[156:157], v[156:157], v[42:43]              // 00000000BC80: D3B1409C 1802559C
	v_pk_mul_f32 v[158:159], v[158:159], v[44:45]              // 00000000BC88: D3B1409E 1802599E
	v_pk_mul_f32 v[156:157], v[156:157], v[92:93]              // 00000000BC90: D3B1409C 1802B99C
	v_pk_mul_f32 v[158:159], v[158:159], v[94:95]              // 00000000BC98: D3B1409E 1802BD9E
	s_waitcnt vmcnt(20)                                        // 00000000BCA0: BF8C4F74
	buffer_load_dwordx4 a[64:67], v46, s[12:15], 0 offen       // 00000000BCA4: E05C1000 8083402E
	v_mul_f32_e64 v42, -v160, s6                               // 00000000BCAC: D105002A 20000DA0
	v_mul_f32_e64 v43, -v161, s6                               // 00000000BCB4: D105002B 20000DA1
	v_mul_f32_e64 v44, -v162, s6                               // 00000000BCBC: D105002C 20000DA2
	v_mul_f32_e64 v45, -v163, s6                               // 00000000BCC4: D105002D 20000DA3
	v_exp_f32_e32 v42, v42                                     // 00000000BCCC: 7E54412A
	v_exp_f32_e32 v43, v43                                     // 00000000BCD0: 7E56412B
	v_exp_f32_e32 v44, v44                                     // 00000000BCD4: 7E58412C
	v_exp_f32_e32 v45, v45                                     // 00000000BCD8: 7E5A412D
	buffer_load_dwordx4 a[68:71], v47, s[12:15], 0 offen       // 00000000BCDC: E05C1000 8083442F
	v_add_f32_e64 v42, v42, 1.0                                // 00000000BCE4: D101002A 0001E52A
	v_add_f32_e64 v43, v43, 1.0                                // 00000000BCEC: D101002B 0001E52B
	v_add_f32_e64 v44, v44, 1.0                                // 00000000BCF4: D101002C 0001E52C
	v_add_f32_e64 v45, v45, 1.0                                // 00000000BCFC: D101002D 0001E52D
	v_rcp_f32_e32 v42, v42                                     // 00000000BD04: 7E54452A
	v_rcp_f32_e32 v43, v43                                     // 00000000BD08: 7E56452B
	v_rcp_f32_e32 v44, v44                                     // 00000000BD0C: 7E58452C
	v_rcp_f32_e32 v45, v45                                     // 00000000BD10: 7E5A452D
	v_pk_mul_f32 v[160:161], v[160:161], v[42:43]              // 00000000BD14: D3B140A0 180255A0
	v_pk_mul_f32 v[162:163], v[162:163], v[44:45]              // 00000000BD1C: D3B140A2 180259A2
	v_pk_mul_f32 v[160:161], v[160:161], v[96:97]              // 00000000BD24: D3B140A0 1802C1A0
	v_pk_mul_f32 v[162:163], v[162:163], v[98:99]              // 00000000BD2C: D3B140A2 1802C5A2
	buffer_load_dwordx4 a[72:75], v48, s[12:15], 0 offen       // 00000000BD34: E05C1000 80834830
	v_mul_f32_e64 v42, -v164, s6                               // 00000000BD3C: D105002A 20000DA4
	v_mul_f32_e64 v43, -v165, s6                               // 00000000BD44: D105002B 20000DA5
	v_mul_f32_e64 v44, -v166, s6                               // 00000000BD4C: D105002C 20000DA6
	v_mul_f32_e64 v45, -v167, s6                               // 00000000BD54: D105002D 20000DA7
	v_exp_f32_e32 v42, v42                                     // 00000000BD5C: 7E54412A
	v_exp_f32_e32 v43, v43                                     // 00000000BD60: 7E56412B
	v_exp_f32_e32 v44, v44                                     // 00000000BD64: 7E58412C
	v_exp_f32_e32 v45, v45                                     // 00000000BD68: 7E5A412D
	buffer_load_dwordx4 a[76:79], v49, s[12:15], 0 offen       // 00000000BD6C: E05C1000 80834C31
	s_add_u32 s12, s78, s12                                    // 00000000BD74: 800C0C4E
	s_addc_u32 s13, 0, s13                                     // 00000000BD78: 820D0D80
	v_add_f32_e64 v42, v42, 1.0                                // 00000000BD7C: D101002A 0001E52A
	v_add_f32_e64 v43, v43, 1.0                                // 00000000BD84: D101002B 0001E52B
	v_add_f32_e64 v44, v44, 1.0                                // 00000000BD8C: D101002C 0001E52C
	v_add_f32_e64 v45, v45, 1.0                                // 00000000BD94: D101002D 0001E52D
	v_rcp_f32_e32 v42, v42                                     // 00000000BD9C: 7E54452A
	v_rcp_f32_e32 v43, v43                                     // 00000000BDA0: 7E56452B
	v_rcp_f32_e32 v44, v44                                     // 00000000BDA4: 7E58452C
	v_rcp_f32_e32 v45, v45                                     // 00000000BDA8: 7E5A452D
	v_pk_mul_f32 v[164:165], v[164:165], v[42:43]              // 00000000BDAC: D3B140A4 180255A4
	v_pk_mul_f32 v[166:167], v[166:167], v[44:45]              // 00000000BDB4: D3B140A6 180259A6
	v_pk_mul_f32 v[164:165], v[164:165], v[100:101]            // 00000000BDBC: D3B140A4 1802C9A4
	v_pk_mul_f32 v[166:167], v[166:167], v[102:103]            // 00000000BDC4: D3B140A6 1802CDA6
	s_waitcnt vmcnt(20)                                        // 00000000BDCC: BF8C4F74
	buffer_load_dwordx4 a[80:83], v46, s[12:15], 0 offen       // 00000000BDD0: E05C1000 8083502E
	v_mul_f32_e64 v42, -v168, s6                               // 00000000BDD8: D105002A 20000DA8
	v_mul_f32_e64 v43, -v169, s6                               // 00000000BDE0: D105002B 20000DA9
	v_mul_f32_e64 v44, -v170, s6                               // 00000000BDE8: D105002C 20000DAA
	v_mul_f32_e64 v45, -v171, s6                               // 00000000BDF0: D105002D 20000DAB
	v_exp_f32_e32 v42, v42                                     // 00000000BDF8: 7E54412A
	v_exp_f32_e32 v43, v43                                     // 00000000BDFC: 7E56412B
	v_exp_f32_e32 v44, v44                                     // 00000000BE00: 7E58412C
	v_exp_f32_e32 v45, v45                                     // 00000000BE04: 7E5A412D
	buffer_load_dwordx4 a[84:87], v47, s[12:15], 0 offen       // 00000000BE08: E05C1000 8083542F
	v_add_f32_e64 v42, v42, 1.0                                // 00000000BE10: D101002A 0001E52A
	v_add_f32_e64 v43, v43, 1.0                                // 00000000BE18: D101002B 0001E52B
	v_add_f32_e64 v44, v44, 1.0                                // 00000000BE20: D101002C 0001E52C
	v_add_f32_e64 v45, v45, 1.0                                // 00000000BE28: D101002D 0001E52D
	v_rcp_f32_e32 v42, v42                                     // 00000000BE30: 7E54452A
	v_rcp_f32_e32 v43, v43                                     // 00000000BE34: 7E56452B
	v_rcp_f32_e32 v44, v44                                     // 00000000BE38: 7E58452C
	v_rcp_f32_e32 v45, v45                                     // 00000000BE3C: 7E5A452D
	v_pk_mul_f32 v[168:169], v[168:169], v[42:43]              // 00000000BE40: D3B140A8 180255A8
	v_pk_mul_f32 v[170:171], v[170:171], v[44:45]              // 00000000BE48: D3B140AA 180259AA
	v_pk_mul_f32 v[168:169], v[168:169], v[104:105]            // 00000000BE50: D3B140A8 1802D1A8
	v_pk_mul_f32 v[170:171], v[170:171], v[106:107]            // 00000000BE58: D3B140AA 1802D5AA
	buffer_load_dwordx4 a[88:91], v48, s[12:15], 0 offen       // 00000000BE60: E05C1000 80835830
	v_mul_f32_e64 v42, -v172, s6                               // 00000000BE68: D105002A 20000DAC
	v_mul_f32_e64 v43, -v173, s6                               // 00000000BE70: D105002B 20000DAD
	v_mul_f32_e64 v44, -v174, s6                               // 00000000BE78: D105002C 20000DAE
	v_mul_f32_e64 v45, -v175, s6                               // 00000000BE80: D105002D 20000DAF
	v_exp_f32_e32 v42, v42                                     // 00000000BE88: 7E54412A
	v_exp_f32_e32 v43, v43                                     // 00000000BE8C: 7E56412B
	v_exp_f32_e32 v44, v44                                     // 00000000BE90: 7E58412C
	v_exp_f32_e32 v45, v45                                     // 00000000BE94: 7E5A412D
	buffer_load_dwordx4 a[92:95], v49, s[12:15], 0 offen       // 00000000BE98: E05C1000 80835C31
	v_add_f32_e64 v42, v42, 1.0                                // 00000000BEA0: D101002A 0001E52A
	v_add_f32_e64 v43, v43, 1.0                                // 00000000BEA8: D101002B 0001E52B
	v_add_f32_e64 v44, v44, 1.0                                // 00000000BEB0: D101002C 0001E52C
	v_add_f32_e64 v45, v45, 1.0                                // 00000000BEB8: D101002D 0001E52D
	v_rcp_f32_e32 v42, v42                                     // 00000000BEC0: 7E54452A
	v_rcp_f32_e32 v43, v43                                     // 00000000BEC4: 7E56452B
	v_rcp_f32_e32 v44, v44                                     // 00000000BEC8: 7E58452C
	v_rcp_f32_e32 v45, v45                                     // 00000000BECC: 7E5A452D
	v_pk_mul_f32 v[172:173], v[172:173], v[42:43]              // 00000000BED0: D3B140AC 180255AC
	v_pk_mul_f32 v[174:175], v[174:175], v[44:45]              // 00000000BED8: D3B140AE 180259AE
	v_pk_mul_f32 v[172:173], v[172:173], v[108:109]            // 00000000BEE0: D3B140AC 1802D9AC
	v_pk_mul_f32 v[174:175], v[174:175], v[110:111]            // 00000000BEE8: D3B140AE 1802DDAE
	v_mul_f32_dpp v128, v18, v128 row_newbcast:0 row_mask:0xf bank_mask:0xf// 00000000BEF0: 0B0100FA FF015012
	v_mul_f32_dpp v129, v18, v129 row_newbcast:1 row_mask:0xf bank_mask:0xf// 00000000BEF8: 0B0302FA FF015112
	v_mul_f32_dpp v130, v18, v130 row_newbcast:2 row_mask:0xf bank_mask:0xf// 00000000BF00: 0B0504FA FF015212
	v_mul_f32_dpp v131, v18, v131 row_newbcast:3 row_mask:0xf bank_mask:0xf// 00000000BF08: 0B0706FA FF015312
	v_mul_f32_dpp v132, v18, v132 row_newbcast:0 row_mask:0xf bank_mask:0xf// 00000000BF10: 0B0908FA FF015012
	v_mul_f32_dpp v133, v18, v133 row_newbcast:1 row_mask:0xf bank_mask:0xf// 00000000BF18: 0B0B0AFA FF015112
	v_mul_f32_dpp v134, v18, v134 row_newbcast:2 row_mask:0xf bank_mask:0xf// 00000000BF20: 0B0D0CFA FF015212
	v_mul_f32_dpp v135, v18, v135 row_newbcast:3 row_mask:0xf bank_mask:0xf// 00000000BF28: 0B0F0EFA FF015312
	v_mul_f32_dpp v136, v18, v136 row_newbcast:4 row_mask:0xf bank_mask:0xf// 00000000BF30: 0B1110FA FF015412
	v_mul_f32_dpp v137, v18, v137 row_newbcast:5 row_mask:0xf bank_mask:0xf// 00000000BF38: 0B1312FA FF015512
	v_mul_f32_dpp v138, v18, v138 row_newbcast:6 row_mask:0xf bank_mask:0xf// 00000000BF40: 0B1514FA FF015612
	v_mul_f32_dpp v139, v18, v139 row_newbcast:7 row_mask:0xf bank_mask:0xf// 00000000BF48: 0B1716FA FF015712
	v_mul_f32_dpp v140, v18, v140 row_newbcast:4 row_mask:0xf bank_mask:0xf// 00000000BF50: 0B1918FA FF015412
	v_mul_f32_dpp v141, v18, v141 row_newbcast:5 row_mask:0xf bank_mask:0xf// 00000000BF58: 0B1B1AFA FF015512
	v_mul_f32_dpp v142, v18, v142 row_newbcast:6 row_mask:0xf bank_mask:0xf// 00000000BF60: 0B1D1CFA FF015612
	v_mul_f32_dpp v143, v18, v143 row_newbcast:7 row_mask:0xf bank_mask:0xf// 00000000BF68: 0B1F1EFA FF015712
	v_mul_f32_dpp v144, v18, v144 row_newbcast:8 row_mask:0xf bank_mask:0xf// 00000000BF70: 0B2120FA FF015812
	v_mul_f32_dpp v145, v18, v145 row_newbcast:9 row_mask:0xf bank_mask:0xf// 00000000BF78: 0B2322FA FF015912
	v_mul_f32_dpp v146, v18, v146 row_newbcast:10 row_mask:0xf bank_mask:0xf// 00000000BF80: 0B2524FA FF015A12
	v_mul_f32_dpp v147, v18, v147 row_newbcast:11 row_mask:0xf bank_mask:0xf// 00000000BF88: 0B2726FA FF015B12
	v_mul_f32_dpp v148, v18, v148 row_newbcast:8 row_mask:0xf bank_mask:0xf// 00000000BF90: 0B2928FA FF015812
	v_mul_f32_dpp v149, v18, v149 row_newbcast:9 row_mask:0xf bank_mask:0xf// 00000000BF98: 0B2B2AFA FF015912
	v_mul_f32_dpp v150, v18, v150 row_newbcast:10 row_mask:0xf bank_mask:0xf// 00000000BFA0: 0B2D2CFA FF015A12
	v_mul_f32_dpp v151, v18, v151 row_newbcast:11 row_mask:0xf bank_mask:0xf// 00000000BFA8: 0B2F2EFA FF015B12
	v_mul_f32_dpp v152, v18, v152 row_newbcast:12 row_mask:0xf bank_mask:0xf// 00000000BFB0: 0B3130FA FF015C12
	v_mul_f32_dpp v153, v18, v153 row_newbcast:13 row_mask:0xf bank_mask:0xf// 00000000BFB8: 0B3332FA FF015D12
	v_mul_f32_dpp v154, v18, v154 row_newbcast:14 row_mask:0xf bank_mask:0xf// 00000000BFC0: 0B3534FA FF015E12
	v_mul_f32_dpp v155, v18, v155 row_newbcast:15 row_mask:0xf bank_mask:0xf// 00000000BFC8: 0B3736FA FF015F12
	v_mul_f32_dpp v156, v18, v156 row_newbcast:12 row_mask:0xf bank_mask:0xf// 00000000BFD0: 0B3938FA FF015C12
	v_mul_f32_dpp v157, v18, v157 row_newbcast:13 row_mask:0xf bank_mask:0xf// 00000000BFD8: 0B3B3AFA FF015D12
	v_mul_f32_dpp v158, v18, v158 row_newbcast:14 row_mask:0xf bank_mask:0xf// 00000000BFE0: 0B3D3CFA FF015E12
	v_mul_f32_dpp v159, v18, v159 row_newbcast:15 row_mask:0xf bank_mask:0xf// 00000000BFE8: 0B3F3EFA FF015F12
	v_mul_f32_dpp v160, v19, v160 row_newbcast:0 row_mask:0xf bank_mask:0xf// 00000000BFF0: 0B4140FA FF015013
	v_mul_f32_dpp v161, v19, v161 row_newbcast:1 row_mask:0xf bank_mask:0xf// 00000000BFF8: 0B4342FA FF015113
	v_mul_f32_dpp v162, v19, v162 row_newbcast:2 row_mask:0xf bank_mask:0xf// 00000000C000: 0B4544FA FF015213
	v_mul_f32_dpp v163, v19, v163 row_newbcast:3 row_mask:0xf bank_mask:0xf// 00000000C008: 0B4746FA FF015313
	v_mul_f32_dpp v164, v19, v164 row_newbcast:0 row_mask:0xf bank_mask:0xf// 00000000C010: 0B4948FA FF015013
	v_mul_f32_dpp v165, v19, v165 row_newbcast:1 row_mask:0xf bank_mask:0xf// 00000000C018: 0B4B4AFA FF015113
	v_mul_f32_dpp v166, v19, v166 row_newbcast:2 row_mask:0xf bank_mask:0xf// 00000000C020: 0B4D4CFA FF015213
	v_mul_f32_dpp v167, v19, v167 row_newbcast:3 row_mask:0xf bank_mask:0xf// 00000000C028: 0B4F4EFA FF015313
	v_mul_f32_dpp v168, v19, v168 row_newbcast:4 row_mask:0xf bank_mask:0xf// 00000000C030: 0B5150FA FF015413
	v_mul_f32_dpp v169, v19, v169 row_newbcast:5 row_mask:0xf bank_mask:0xf// 00000000C038: 0B5352FA FF015513
	v_mul_f32_dpp v170, v19, v170 row_newbcast:6 row_mask:0xf bank_mask:0xf// 00000000C040: 0B5554FA FF015613
	v_mul_f32_dpp v171, v19, v171 row_newbcast:7 row_mask:0xf bank_mask:0xf// 00000000C048: 0B5756FA FF015713
	v_mul_f32_dpp v172, v19, v172 row_newbcast:4 row_mask:0xf bank_mask:0xf// 00000000C050: 0B5958FA FF015413
	v_mul_f32_dpp v173, v19, v173 row_newbcast:5 row_mask:0xf bank_mask:0xf// 00000000C058: 0B5B5AFA FF015513
	v_mul_f32_dpp v174, v19, v174 row_newbcast:6 row_mask:0xf bank_mask:0xf// 00000000C060: 0B5D5CFA FF015613
	v_mul_f32_dpp v175, v19, v175 row_newbcast:7 row_mask:0xf bank_mask:0xf// 00000000C068: 0B5F5EFA FF015713
	v_lshlrev_b32_e32 v42, 2, v0                               // 00000000C070: 24540082
	s_mul_i32 s60, s82, s71                                    // 00000000C074: 923C4752
	v_add_u32_e64 v80, v42, s60                                // 00000000C078: D1340050 0000792A
	v_mov_b32_e32 v81, 0                                       // 00000000C080: 7EA20280
	s_mul_i32 s60, s83, s71                                    // 00000000C084: 923C4753
	v_add_u32_e64 v82, v42, s60                                // 00000000C088: D1340052 0000792A
	v_mov_b32_e32 v83, 0                                       // 00000000C090: 7EA60280
	s_mul_i32 s60, s84, s71                                    // 00000000C094: 923C4754
	v_add_u32_e64 v84, v42, s60                                // 00000000C098: D1340054 0000792A
	v_mov_b32_e32 v85, 0                                       // 00000000C0A0: 7EAA0280
	s_mul_i32 s60, s85, s71                                    // 00000000C0A4: 923C4755
	v_add_u32_e64 v86, v42, s60                                // 00000000C0A8: D1340056 0000792A
	v_mov_b32_e32 v87, 0                                       // 00000000C0B0: 7EAE0280
	s_mul_i32 s60, s86, s71                                    // 00000000C0B4: 923C4756
	v_add_u32_e64 v88, v42, s60                                // 00000000C0B8: D1340058 0000792A
	v_mov_b32_e32 v89, 0                                       // 00000000C0C0: 7EB20280
	s_mul_i32 s60, s87, s71                                    // 00000000C0C4: 923C4757
	v_add_u32_e64 v90, v42, s60                                // 00000000C0C8: D134005A 0000792A
	v_mov_b32_e32 v91, 0                                       // 00000000C0D0: 7EB60280
	s_mul_i32 s60, s88, s71                                    // 00000000C0D4: 923C4758
	v_add_u32_e64 v92, v42, s60                                // 00000000C0D8: D134005C 0000792A
	v_mov_b32_e32 v93, 0                                       // 00000000C0E0: 7EBA0280
	s_mul_i32 s60, s89, s71                                    // 00000000C0E4: 923C4759
	v_add_u32_e64 v94, v42, s60                                // 00000000C0E8: D134005E 0000792A
	v_mov_b32_e32 v95, 0                                       // 00000000C0F0: 7EBE0280
	buffer_load_dword v12, v5, s[16:19], 0 offen               // 00000000C0F4: E0501000 80040C05
	v_mov_b32_e32 v22, 0x358637bd                              // 00000000C0FC: 7E2C02FF 358637BD
	v_mov_b32_e32 v23, 0x358637bd                              // 00000000C104: 7E2E02FF 358637BD
	v_max3_f32 v22, |v128|, |v129|, v22                        // 00000000C10C: D1D30316 045B0380
	v_max3_f32 v22, |v130|, |v131|, v22                        // 00000000C114: D1D30316 045B0782
	v_max3_f32 v23, |v132|, |v133|, v23                        // 00000000C11C: D1D30317 045F0B84
	v_max3_f32 v23, |v134|, |v135|, v23                        // 00000000C124: D1D30317 045F0F86
	v_max3_f32 v22, |v136|, |v137|, v22                        // 00000000C12C: D1D30316 045B1388
	v_max3_f32 v22, |v138|, |v139|, v22                        // 00000000C134: D1D30316 045B178A
	v_max3_f32 v23, |v140|, |v141|, v23                        // 00000000C13C: D1D30317 045F1B8C
	v_max3_f32 v23, |v142|, |v143|, v23                        // 00000000C144: D1D30317 045F1F8E
	v_max3_f32 v22, |v144|, |v145|, v22                        // 00000000C14C: D1D30316 045B2390
	v_max3_f32 v22, |v146|, |v147|, v22                        // 00000000C154: D1D30316 045B2792
	v_max3_f32 v23, |v148|, |v149|, v23                        // 00000000C15C: D1D30317 045F2B94
	v_max3_f32 v23, |v150|, |v151|, v23                        // 00000000C164: D1D30317 045F2F96
	v_max3_f32 v22, |v152|, |v153|, v22                        // 00000000C16C: D1D30316 045B3398
	v_max3_f32 v22, |v154|, |v155|, v22                        // 00000000C174: D1D30316 045B379A
	v_max3_f32 v23, |v156|, |v157|, v23                        // 00000000C17C: D1D30317 045F3B9C
	v_max3_f32 v23, |v158|, |v159|, v23                        // 00000000C184: D1D30317 045F3F9E
	v_max3_f32 v22, |v160|, |v161|, v22                        // 00000000C18C: D1D30316 045B43A0
	v_max3_f32 v22, |v162|, |v163|, v22                        // 00000000C194: D1D30316 045B47A2
	v_max3_f32 v23, |v164|, |v165|, v23                        // 00000000C19C: D1D30317 045F4BA4
	v_max3_f32 v23, |v166|, |v167|, v23                        // 00000000C1A4: D1D30317 045F4FA6
	v_max3_f32 v22, |v168|, |v169|, v22                        // 00000000C1AC: D1D30316 045B53A8
	v_max3_f32 v22, |v170|, |v171|, v22                        // 00000000C1B4: D1D30316 045B57AA
	v_max3_f32 v23, |v172|, |v173|, v23                        // 00000000C1BC: D1D30317 045F5BAC
	v_max3_f32 v23, |v174|, |v175|, v23                        // 00000000C1C4: D1D30317 045F5FAE
	v_lshlrev_b32_e32 v42, 3, v0                               // 00000000C1CC: 24540083
	s_mul_i32 s60, 0x200, s5                                   // 00000000C1D0: 923C05FF 00000200
	v_add_u32_e32 v42, s60, v42                                // 00000000C1D8: 6854543C
	ds_write_b64 v42, v[22:23]                                 // 00000000C1DC: D89A0000 0000162A
	s_waitcnt lgkmcnt(0)                                       // 00000000C1E4: BF8CC07F
	s_barrier                                                  // 00000000C1E8: BF8A0000
	v_and_b32_e32 v42, 15, v0                                  // 00000000C1EC: 2654008F
	v_lshlrev_b32_e32 v42, 3, v42                              // 00000000C1F0: 24545483
	ds_read_b64 v[96:97], v42                                  // 00000000C1F4: D8EC0000 6000002A
	ds_read_b64 v[98:99], v42 offset:128                       // 00000000C1FC: D8EC0080 6200002A
	ds_read_b64 v[100:101], v42 offset:256                     // 00000000C204: D8EC0100 6400002A
	ds_read_b64 v[102:103], v42 offset:384                     // 00000000C20C: D8EC0180 6600002A
	ds_read_b64 v[104:105], v42 offset:512                     // 00000000C214: D8EC0200 6800002A
	ds_read_b64 v[106:107], v42 offset:640                     // 00000000C21C: D8EC0280 6A00002A
	ds_read_b64 v[108:109], v42 offset:768                     // 00000000C224: D8EC0300 6C00002A
	ds_read_b64 v[110:111], v42 offset:896                     // 00000000C22C: D8EC0380 6E00002A
	ds_read_b64 v[112:113], v42 offset:1024                    // 00000000C234: D8EC0400 7000002A
	ds_read_b64 v[114:115], v42 offset:1152                    // 00000000C23C: D8EC0480 7200002A
	ds_read_b64 v[116:117], v42 offset:1280                    // 00000000C244: D8EC0500 7400002A
	ds_read_b64 v[118:119], v42 offset:1408                    // 00000000C24C: D8EC0580 7600002A
	ds_read_b64 v[120:121], v42 offset:1536                    // 00000000C254: D8EC0600 7800002A
	ds_read_b64 v[122:123], v42 offset:1664                    // 00000000C25C: D8EC0680 7A00002A
	ds_read_b64 v[124:125], v42 offset:1792                    // 00000000C264: D8EC0700 7C00002A
	ds_read_b64 v[126:127], v42 offset:1920                    // 00000000C26C: D8EC0780 7E00002A
	s_waitcnt lgkmcnt(0)                                       // 00000000C274: BF8CC07F
	v_max3_f32 v22, |v96|, |v98|, v22                          // 00000000C278: D1D30316 045AC560
	v_max3_f32 v23, |v97|, |v99|, v23                          // 00000000C280: D1D30317 045EC761
	v_max3_f32 v22, |v100|, |v102|, v22                        // 00000000C288: D1D30316 045ACD64
	v_max3_f32 v23, |v101|, |v103|, v23                        // 00000000C290: D1D30317 045ECF65
	v_max3_f32 v22, |v104|, |v106|, v22                        // 00000000C298: D1D30316 045AD568
	v_max3_f32 v23, |v105|, |v107|, v23                        // 00000000C2A0: D1D30317 045ED769
	v_max3_f32 v22, |v108|, |v110|, v22                        // 00000000C2A8: D1D30316 045ADD6C
	v_max3_f32 v23, |v109|, |v111|, v23                        // 00000000C2B0: D1D30317 045EDF6D
	v_max3_f32 v22, |v112|, |v114|, v22                        // 00000000C2B8: D1D30316 045AE570
	v_max3_f32 v23, |v113|, |v115|, v23                        // 00000000C2C0: D1D30317 045EE771
	v_max3_f32 v22, |v116|, |v118|, v22                        // 00000000C2C8: D1D30316 045AED74
	v_max3_f32 v23, |v117|, |v119|, v23                        // 00000000C2D0: D1D30317 045EEF75
	v_max3_f32 v22, |v120|, |v122|, v22                        // 00000000C2D8: D1D30316 045AF578
	v_max3_f32 v23, |v121|, |v123|, v23                        // 00000000C2E0: D1D30317 045EF779
	v_max3_f32 v22, |v124|, |v126|, v22                        // 00000000C2E8: D1D30316 045AFD7C
	v_max3_f32 v23, |v125|, |v127|, v23                        // 00000000C2F0: D1D30317 045EFF7D
	v_rcp_f32_e32 v22, v22                                     // 00000000C2F8: 7E2C4516
	v_rcp_f32_e32 v23, v23                                     // 00000000C2FC: 7E2E4517
	v_mov_b32_e32 v42, 0x42fe0000                              // 00000000C300: 7E5402FF 42FE0000
	v_mul_f32_e32 v22, v42, v22                                // 00000000C308: 0A2C2D2A
	v_mul_f32_e32 v23, v42, v23                                // 00000000C30C: 0A2E2F2A
	v_mul_f32_e32 v128, v22, v128                              // 00000000C310: 0B010116
	v_mul_f32_e32 v129, v22, v129                              // 00000000C314: 0B030316
	v_mul_f32_e32 v130, v22, v130                              // 00000000C318: 0B050516
	v_mul_f32_e32 v131, v22, v131                              // 00000000C31C: 0B070716
	v_cvt_i32_f32_e32 v128, v128                               // 00000000C320: 7F001180
	v_cvt_i32_f32_e32 v129, v129                               // 00000000C324: 7F021181
	v_cvt_i32_f32_e32 v130, v130                               // 00000000C328: 7F041182
	v_cvt_i32_f32_e32 v131, v131                               // 00000000C32C: 7F061183
	v_perm_b32 v128, v129, v128, s53                           // 00000000C330: D1ED0080 00D70181
	v_perm_b32 v128, v130, v128, s54                           // 00000000C338: D1ED0080 00DB0182
	v_perm_b32 v128, v131, v128, s55                           // 00000000C340: D1ED0080 00DF0183
	v_mul_f32_e32 v132, v23, v132                              // 00000000C348: 0B090917
	v_mul_f32_e32 v133, v23, v133                              // 00000000C34C: 0B0B0B17
	v_mul_f32_e32 v134, v23, v134                              // 00000000C350: 0B0D0D17
	v_mul_f32_e32 v135, v23, v135                              // 00000000C354: 0B0F0F17
	v_cvt_i32_f32_e32 v132, v132                               // 00000000C358: 7F081184
	v_cvt_i32_f32_e32 v133, v133                               // 00000000C35C: 7F0A1185
	v_cvt_i32_f32_e32 v134, v134                               // 00000000C360: 7F0C1186
	v_cvt_i32_f32_e32 v135, v135                               // 00000000C364: 7F0E1187
	v_perm_b32 v129, v133, v132, s53                           // 00000000C368: D1ED0081 00D70985
	v_perm_b32 v129, v134, v129, s54                           // 00000000C370: D1ED0081 00DB0386
	v_perm_b32 v129, v135, v129, s55                           // 00000000C378: D1ED0081 00DF0387
	v_mul_f32_e32 v136, v22, v136                              // 00000000C380: 0B111116
	v_mul_f32_e32 v137, v22, v137                              // 00000000C384: 0B131316
	v_mul_f32_e32 v138, v22, v138                              // 00000000C388: 0B151516
	v_mul_f32_e32 v139, v22, v139                              // 00000000C38C: 0B171716
	v_cvt_i32_f32_e32 v136, v136                               // 00000000C390: 7F101188
	v_cvt_i32_f32_e32 v137, v137                               // 00000000C394: 7F121189
	v_cvt_i32_f32_e32 v138, v138                               // 00000000C398: 7F14118A
	v_cvt_i32_f32_e32 v139, v139                               // 00000000C39C: 7F16118B
	v_perm_b32 v130, v137, v136, s53                           // 00000000C3A0: D1ED0082 00D71189
	v_perm_b32 v130, v138, v130, s54                           // 00000000C3A8: D1ED0082 00DB058A
	v_perm_b32 v130, v139, v130, s55                           // 00000000C3B0: D1ED0082 00DF058B
	v_mul_f32_e32 v140, v23, v140                              // 00000000C3B8: 0B191917
	v_mul_f32_e32 v141, v23, v141                              // 00000000C3BC: 0B1B1B17
	v_mul_f32_e32 v142, v23, v142                              // 00000000C3C0: 0B1D1D17
	v_mul_f32_e32 v143, v23, v143                              // 00000000C3C4: 0B1F1F17
	v_cvt_i32_f32_e32 v140, v140                               // 00000000C3C8: 7F18118C
	v_cvt_i32_f32_e32 v141, v141                               // 00000000C3CC: 7F1A118D
	v_cvt_i32_f32_e32 v142, v142                               // 00000000C3D0: 7F1C118E
	v_cvt_i32_f32_e32 v143, v143                               // 00000000C3D4: 7F1E118F
	v_perm_b32 v131, v141, v140, s53                           // 00000000C3D8: D1ED0083 00D7198D
	v_perm_b32 v131, v142, v131, s54                           // 00000000C3E0: D1ED0083 00DB078E
	v_perm_b32 v131, v143, v131, s55                           // 00000000C3E8: D1ED0083 00DF078F
	v_mul_f32_e32 v144, v22, v144                              // 00000000C3F0: 0B212116
	v_mul_f32_e32 v145, v22, v145                              // 00000000C3F4: 0B232316
	v_mul_f32_e32 v146, v22, v146                              // 00000000C3F8: 0B252516
	v_mul_f32_e32 v147, v22, v147                              // 00000000C3FC: 0B272716
	v_cvt_i32_f32_e32 v144, v144                               // 00000000C400: 7F201190
	v_cvt_i32_f32_e32 v145, v145                               // 00000000C404: 7F221191
	v_cvt_i32_f32_e32 v146, v146                               // 00000000C408: 7F241192
	v_cvt_i32_f32_e32 v147, v147                               // 00000000C40C: 7F261193
	v_perm_b32 v132, v145, v144, s53                           // 00000000C410: D1ED0084 00D72191
	v_perm_b32 v132, v146, v132, s54                           // 00000000C418: D1ED0084 00DB0992
	v_perm_b32 v132, v147, v132, s55                           // 00000000C420: D1ED0084 00DF0993
	v_mul_f32_e32 v148, v23, v148                              // 00000000C428: 0B292917
	v_mul_f32_e32 v149, v23, v149                              // 00000000C42C: 0B2B2B17
	v_mul_f32_e32 v150, v23, v150                              // 00000000C430: 0B2D2D17
	v_mul_f32_e32 v151, v23, v151                              // 00000000C434: 0B2F2F17
	v_cvt_i32_f32_e32 v148, v148                               // 00000000C438: 7F281194
	v_cvt_i32_f32_e32 v149, v149                               // 00000000C43C: 7F2A1195
	v_cvt_i32_f32_e32 v150, v150                               // 00000000C440: 7F2C1196
	v_cvt_i32_f32_e32 v151, v151                               // 00000000C444: 7F2E1197
	v_perm_b32 v133, v149, v148, s53                           // 00000000C448: D1ED0085 00D72995
	v_perm_b32 v133, v150, v133, s54                           // 00000000C450: D1ED0085 00DB0B96
	v_perm_b32 v133, v151, v133, s55                           // 00000000C458: D1ED0085 00DF0B97
	v_mul_f32_e32 v152, v22, v152                              // 00000000C460: 0B313116
	v_mul_f32_e32 v153, v22, v153                              // 00000000C464: 0B333316
	v_mul_f32_e32 v154, v22, v154                              // 00000000C468: 0B353516
	v_mul_f32_e32 v155, v22, v155                              // 00000000C46C: 0B373716
	v_cvt_i32_f32_e32 v152, v152                               // 00000000C470: 7F301198
	v_cvt_i32_f32_e32 v153, v153                               // 00000000C474: 7F321199
	v_cvt_i32_f32_e32 v154, v154                               // 00000000C478: 7F34119A
	v_cvt_i32_f32_e32 v155, v155                               // 00000000C47C: 7F36119B
	v_perm_b32 v134, v153, v152, s53                           // 00000000C480: D1ED0086 00D73199
	v_perm_b32 v134, v154, v134, s54                           // 00000000C488: D1ED0086 00DB0D9A
	v_perm_b32 v134, v155, v134, s55                           // 00000000C490: D1ED0086 00DF0D9B
	v_mul_f32_e32 v156, v23, v156                              // 00000000C498: 0B393917
	v_mul_f32_e32 v157, v23, v157                              // 00000000C49C: 0B3B3B17
	v_mul_f32_e32 v158, v23, v158                              // 00000000C4A0: 0B3D3D17
	v_mul_f32_e32 v159, v23, v159                              // 00000000C4A4: 0B3F3F17
	v_cvt_i32_f32_e32 v156, v156                               // 00000000C4A8: 7F38119C
	v_cvt_i32_f32_e32 v157, v157                               // 00000000C4AC: 7F3A119D
	v_cvt_i32_f32_e32 v158, v158                               // 00000000C4B0: 7F3C119E
	v_cvt_i32_f32_e32 v159, v159                               // 00000000C4B4: 7F3E119F
	v_perm_b32 v135, v157, v156, s53                           // 00000000C4B8: D1ED0087 00D7399D
	v_perm_b32 v135, v158, v135, s54                           // 00000000C4C0: D1ED0087 00DB0F9E
	v_perm_b32 v135, v159, v135, s55                           // 00000000C4C8: D1ED0087 00DF0F9F
	v_mul_f32_e32 v160, v22, v160                              // 00000000C4D0: 0B414116
	v_mul_f32_e32 v161, v22, v161                              // 00000000C4D4: 0B434316
	v_mul_f32_e32 v162, v22, v162                              // 00000000C4D8: 0B454516
	v_mul_f32_e32 v163, v22, v163                              // 00000000C4DC: 0B474716
	v_cvt_i32_f32_e32 v160, v160                               // 00000000C4E0: 7F4011A0
	v_cvt_i32_f32_e32 v161, v161                               // 00000000C4E4: 7F4211A1
	v_cvt_i32_f32_e32 v162, v162                               // 00000000C4E8: 7F4411A2
	v_cvt_i32_f32_e32 v163, v163                               // 00000000C4EC: 7F4611A3
	v_perm_b32 v136, v161, v160, s53                           // 00000000C4F0: D1ED0088 00D741A1
	v_perm_b32 v136, v162, v136, s54                           // 00000000C4F8: D1ED0088 00DB11A2
	v_perm_b32 v136, v163, v136, s55                           // 00000000C500: D1ED0088 00DF11A3
	v_mul_f32_e32 v164, v23, v164                              // 00000000C508: 0B494917
	v_mul_f32_e32 v165, v23, v165                              // 00000000C50C: 0B4B4B17
	v_mul_f32_e32 v166, v23, v166                              // 00000000C510: 0B4D4D17
	v_mul_f32_e32 v167, v23, v167                              // 00000000C514: 0B4F4F17
	v_cvt_i32_f32_e32 v164, v164                               // 00000000C518: 7F4811A4
	v_cvt_i32_f32_e32 v165, v165                               // 00000000C51C: 7F4A11A5
	v_cvt_i32_f32_e32 v166, v166                               // 00000000C520: 7F4C11A6
	v_cvt_i32_f32_e32 v167, v167                               // 00000000C524: 7F4E11A7
	v_perm_b32 v137, v165, v164, s53                           // 00000000C528: D1ED0089 00D749A5
	v_perm_b32 v137, v166, v137, s54                           // 00000000C530: D1ED0089 00DB13A6
	v_perm_b32 v137, v167, v137, s55                           // 00000000C538: D1ED0089 00DF13A7
	v_mul_f32_e32 v168, v22, v168                              // 00000000C540: 0B515116
	v_mul_f32_e32 v169, v22, v169                              // 00000000C544: 0B535316
	v_mul_f32_e32 v170, v22, v170                              // 00000000C548: 0B555516
	v_mul_f32_e32 v171, v22, v171                              // 00000000C54C: 0B575716
	v_cvt_i32_f32_e32 v168, v168                               // 00000000C550: 7F5011A8
	v_cvt_i32_f32_e32 v169, v169                               // 00000000C554: 7F5211A9
	v_cvt_i32_f32_e32 v170, v170                               // 00000000C558: 7F5411AA
	v_cvt_i32_f32_e32 v171, v171                               // 00000000C55C: 7F5611AB
	v_perm_b32 v138, v169, v168, s53                           // 00000000C560: D1ED008A 00D751A9
	v_perm_b32 v138, v170, v138, s54                           // 00000000C568: D1ED008A 00DB15AA
	v_perm_b32 v138, v171, v138, s55                           // 00000000C570: D1ED008A 00DF15AB
	v_mul_f32_e32 v172, v23, v172                              // 00000000C578: 0B595917
	v_mul_f32_e32 v173, v23, v173                              // 00000000C57C: 0B5B5B17
	v_mul_f32_e32 v174, v23, v174                              // 00000000C580: 0B5D5D17
	v_mul_f32_e32 v175, v23, v175                              // 00000000C584: 0B5F5F17
	v_cvt_i32_f32_e32 v172, v172                               // 00000000C588: 7F5811AC
	v_cvt_i32_f32_e32 v173, v173                               // 00000000C58C: 7F5A11AD
	v_cvt_i32_f32_e32 v174, v174                               // 00000000C590: 7F5C11AE
	v_cvt_i32_f32_e32 v175, v175                               // 00000000C594: 7F5E11AF
	v_perm_b32 v139, v173, v172, s53                           // 00000000C598: D1ED008B 00D759AD
	v_perm_b32 v139, v174, v139, s54                           // 00000000C5A0: D1ED008B 00DB17AE
	v_perm_b32 v139, v175, v139, s55                           // 00000000C5A8: D1ED008B 00DF17AF
	v_rcp_f32_e32 v24, v22                                     // 00000000C5B0: 7E304516
	v_rcp_f32_e32 v25, v23                                     // 00000000C5B4: 7E324517
	v_lshrrev_b32_e32 v42, 5, v0                               // 00000000C5B8: 20540085
	v_lshlrev_b32_e32 v43, 5, v42                              // 00000000C5BC: 24565485
	v_and_b32_e32 v42, 31, v0                                  // 00000000C5C0: 2654009F
	v_lshrrev_b32_e32 v44, 4, v42                              // 00000000C5C4: 20585484
	v_add_u32_e32 v43, v44, v43                                // 00000000C5C8: 6856572C
	v_and_b32_e32 v42, 15, v0                                  // 00000000C5CC: 2654008F
	v_lshlrev_b32_e32 v42, 1, v42                              // 00000000C5D0: 24545481
	v_add_u32_e32 v43, v42, v43                                // 00000000C5D4: 6856572A
	v_lshlrev_b32_e32 v42, 2, v43                              // 00000000C5D8: 24545682
	s_mul_i32 s60, 0x100, s5                                   // 00000000C5DC: 923C05FF 00000100
	v_add_u32_e64 v42, v42, s60                                // 00000000C5E4: D134002A 0000792A
	ds_write_b32 v42, v128 offset:2048                         // 00000000C5EC: D81A0800 0000802A
	ds_write_b32 v42, v129 offset:8192                         // 00000000C5F4: D81A2000 0000812A
	ds_write_b32 v42, v130 offset:3072                         // 00000000C5FC: D81A0C00 0000822A
	ds_write_b32 v42, v131 offset:9216                         // 00000000C604: D81A2400 0000832A
	ds_write_b32 v42, v132 offset:4096                         // 00000000C60C: D81A1000 0000842A
	ds_write_b32 v42, v133 offset:10240                        // 00000000C614: D81A2800 0000852A
	ds_write_b32 v42, v134 offset:5120                         // 00000000C61C: D81A1400 0000862A
	ds_write_b32 v42, v135 offset:11264                        // 00000000C624: D81A2C00 0000872A
	ds_write_b32 v42, v136 offset:6144                         // 00000000C62C: D81A1800 0000882A
	ds_write_b32 v42, v137 offset:12288                        // 00000000C634: D81A3000 0000892A
	ds_write_b32 v42, v138 offset:7168                         // 00000000C63C: D81A1C00 00008A2A
	ds_write_b32 v42, v139 offset:13312                        // 00000000C644: D81A3400 00008B2A
	s_waitcnt lgkmcnt(0)                                       // 00000000C64C: BF8CC07F
	s_barrier                                                  // 00000000C650: BF8A0000
	v_lshrrev_b32_e32 v42, 4, v0                               // 00000000C654: 20540084
	v_lshlrev_b32_e32 v43, 6, v42                              // 00000000C658: 24565486
	v_and_b32_e32 v42, 15, v0                                  // 00000000C65C: 2654008F
	v_lshlrev_b32_e32 v42, 1, v42                              // 00000000C660: 24545481
	v_add_u32_e32 v43, v42, v43                                // 00000000C664: 6856572A
	v_lshlrev_b32_e32 v42, 2, v43                              // 00000000C668: 24545682
	ds_read_b64 v[128:129], v42 offset:2048                    // 00000000C66C: D8EC0800 8000002A
	ds_read_b64 v[130:131], v42 offset:2176                    // 00000000C674: D8EC0880 8200002A
	ds_read_b64 v[132:133], v42 offset:3072                    // 00000000C67C: D8EC0C00 8400002A
	ds_read_b64 v[134:135], v42 offset:3200                    // 00000000C684: D8EC0C80 8600002A
	ds_read_b64 v[136:137], v42 offset:4096                    // 00000000C68C: D8EC1000 8800002A
	ds_read_b64 v[138:139], v42 offset:4224                    // 00000000C694: D8EC1080 8A00002A
	ds_read_b64 v[140:141], v42 offset:5120                    // 00000000C69C: D8EC1400 8C00002A
	ds_read_b64 v[142:143], v42 offset:5248                    // 00000000C6A4: D8EC1480 8E00002A
	ds_read_b64 v[144:145], v42 offset:6144                    // 00000000C6AC: D8EC1800 9000002A
	ds_read_b64 v[146:147], v42 offset:6272                    // 00000000C6B4: D8EC1880 9200002A
	ds_read_b64 v[148:149], v42 offset:7168                    // 00000000C6BC: D8EC1C00 9400002A
	ds_read_b64 v[150:151], v42 offset:7296                    // 00000000C6C4: D8EC1C80 9600002A
	ds_read_b64 v[152:153], v42 offset:8192                    // 00000000C6CC: D8EC2000 9800002A
	ds_read_b64 v[154:155], v42 offset:8320                    // 00000000C6D4: D8EC2080 9A00002A
	ds_read_b64 v[156:157], v42 offset:9216                    // 00000000C6DC: D8EC2400 9C00002A
	ds_read_b64 v[158:159], v42 offset:9344                    // 00000000C6E4: D8EC2480 9E00002A
	ds_read_b64 v[160:161], v42 offset:10240                   // 00000000C6EC: D8EC2800 A000002A
	ds_read_b64 v[162:163], v42 offset:10368                   // 00000000C6F4: D8EC2880 A200002A
	ds_read_b64 v[164:165], v42 offset:11264                   // 00000000C6FC: D8EC2C00 A400002A
	ds_read_b64 v[166:167], v42 offset:11392                   // 00000000C704: D8EC2C80 A600002A
	ds_read_b64 v[168:169], v42 offset:12288                   // 00000000C70C: D8EC3000 A800002A
	ds_read_b64 v[170:171], v42 offset:12416                   // 00000000C714: D8EC3080 AA00002A
	ds_read_b64 v[172:173], v42 offset:13312                   // 00000000C71C: D8EC3400 AC00002A
	ds_read_b64 v[174:175], v42 offset:13440                   // 00000000C724: D8EC3480 AE00002A
	s_add_u32 s12, s56, s12                                    // 00000000C72C: 800C0C38
	s_addc_u32 s13, 0, s13                                     // 00000000C730: 820D0D80
	s_add_u32 s16, s79, s16                                    // 00000000C734: 8010104F
	s_addc_u32 s17, 0, s17                                     // 00000000C738: 82111180
	s_waitcnt lgkmcnt(0)                                       // 00000000C73C: BF8CC07F
	s_barrier                                                  // 00000000C740: BF8A0000
	v_mov_b32_e32 v176, 0                                      // 00000000C744: 7F600280
	v_mov_b32_e32 v208, 0                                      // 00000000C748: 7FA00280
	v_mov_b32_e32 v177, 0                                      // 00000000C74C: 7F620280
	v_mov_b32_e32 v209, 0                                      // 00000000C750: 7FA20280
	v_mov_b32_e32 v178, 0                                      // 00000000C754: 7F640280
	v_mov_b32_e32 v210, 0                                      // 00000000C758: 7FA40280
	v_mov_b32_e32 v179, 0                                      // 00000000C75C: 7F660280
	v_mov_b32_e32 v211, 0                                      // 00000000C760: 7FA60280
	v_mov_b32_e32 v180, 0                                      // 00000000C764: 7F680280
	v_mov_b32_e32 v212, 0                                      // 00000000C768: 7FA80280
	v_mov_b32_e32 v181, 0                                      // 00000000C76C: 7F6A0280
	v_mov_b32_e32 v213, 0                                      // 00000000C770: 7FAA0280
	v_mov_b32_e32 v182, 0                                      // 00000000C774: 7F6C0280
	v_mov_b32_e32 v214, 0                                      // 00000000C778: 7FAC0280
	v_mov_b32_e32 v183, 0                                      // 00000000C77C: 7F6E0280
	v_mov_b32_e32 v215, 0                                      // 00000000C780: 7FAE0280
	v_mov_b32_e32 v184, 0                                      // 00000000C784: 7F700280
	v_mov_b32_e32 v216, 0                                      // 00000000C788: 7FB00280
	v_mov_b32_e32 v185, 0                                      // 00000000C78C: 7F720280
	v_mov_b32_e32 v217, 0                                      // 00000000C790: 7FB20280
	v_mov_b32_e32 v186, 0                                      // 00000000C794: 7F740280
	v_mov_b32_e32 v218, 0                                      // 00000000C798: 7FB40280
	v_mov_b32_e32 v187, 0                                      // 00000000C79C: 7F760280
	v_mov_b32_e32 v219, 0                                      // 00000000C7A0: 7FB60280
	v_mov_b32_e32 v188, 0                                      // 00000000C7A4: 7F780280
	v_mov_b32_e32 v220, 0                                      // 00000000C7A8: 7FB80280
	v_mov_b32_e32 v189, 0                                      // 00000000C7AC: 7F7A0280
	v_mov_b32_e32 v221, 0                                      // 00000000C7B0: 7FBA0280
	v_mov_b32_e32 v190, 0                                      // 00000000C7B4: 7F7C0280
	v_mov_b32_e32 v222, 0                                      // 00000000C7B8: 7FBC0280
	v_mov_b32_e32 v191, 0                                      // 00000000C7BC: 7F7E0280
	v_mov_b32_e32 v223, 0                                      // 00000000C7C0: 7FBE0280
	ds_write_b64 v3, v[176:177] offset:2048                    // 00000000C7C4: D89A0800 0000B003
	ds_write_b64 v3, v[178:179] offset:10752                   // 00000000C7CC: D89A2A00 0000B203
	ds_write_b64 v3, v[180:181] offset:4224                    // 00000000C7D4: D89A1080 0000B403
	ds_write_b64 v3, v[182:183] offset:12928                   // 00000000C7DC: D89A3280 0000B603
	ds_write_b64 v3, v[184:185] offset:6400                    // 00000000C7E4: D89A1900 0000B803
	ds_write_b64 v3, v[186:187] offset:15104                   // 00000000C7EC: D89A3B00 0000BA03
	ds_write_b64 v3, v[188:189] offset:8576                    // 00000000C7F4: D89A2180 0000BC03
	ds_write_b64 v3, v[190:191] offset:17280                   // 00000000C7FC: D89A4380 0000BE03
	s_mov_b32 s80, 0                                           // 00000000C804: BED00080
	s_waitcnt vmcnt(0) expcnt(0) lgkmcnt(0)                    // 00000000C808: BF8C0000

000000000000c80c <label_2683>:
	s_waitcnt vmcnt(21) lgkmcnt(0)                             // 00000000C80C: BF8C4075
	s_barrier                                                  // 00000000C810: BF8A0000
	v_mfma_i32_16x16x32_i8 v[176:179], a[0:1], v[128:129], 0   // 00000000C814: D3D700B0 0A030100
	buffer_load_dwordx4 a[96:99], v46, s[12:15], 0 offen       // 00000000C81C: E05C1000 8083602E
	v_mfma_i32_16x16x32_i8 v[176:179], a[2:3], v[130:131], v[176:179]// 00000000C824: D3D700B0 0EC30502
	ds_read_b32 v64, v4 offset:2048                            // 00000000C82C: D86C0800 40000004
	ds_read_b32 v65, v4 offset:6400                            // 00000000C834: D86C1900 41000004
	v_mfma_i32_16x16x32_i8 v[180:183], a[0:1], v[152:153], 0   // 00000000C83C: D3D700B4 0A033100
	v_mfma_i32_16x16x32_i8 v[180:183], a[2:3], v[154:155], v[180:183]// 00000000C844: D3D700B4 0ED33502
	ds_read_b32 v66, v4 offset:2080                            // 00000000C84C: D86C0820 42000004
	ds_read_b32 v67, v4 offset:6432                            // 00000000C854: D86C1920 43000004
	v_mfma_i32_16x16x32_i8 v[184:187], a[4:5], v[128:129], 0   // 00000000C85C: D3D700B8 0A030104
	buffer_load_dwordx4 a[100:103], v47, s[12:15], 0 offen     // 00000000C864: E05C1000 8083642F
	v_mfma_i32_16x16x32_i8 v[184:187], a[6:7], v[130:131], v[184:187]// 00000000C86C: D3D700B8 0EE30506
	ds_read_b32 v68, v4 offset:2112                            // 00000000C874: D86C0840 44000004
	ds_read_b32 v69, v4 offset:6464                            // 00000000C87C: D86C1940 45000004
	v_mfma_i32_16x16x32_i8 v[188:191], a[4:5], v[152:153], 0   // 00000000C884: D3D700BC 0A033104
	v_mfma_i32_16x16x32_i8 v[188:191], a[6:7], v[154:155], v[188:191]// 00000000C88C: D3D700BC 0EF33506
	ds_read_b32 v70, v4 offset:2144                            // 00000000C894: D86C0860 46000004
	ds_read_b32 v71, v4 offset:6496                            // 00000000C89C: D86C1960 47000004
	v_mfma_i32_16x16x32_i8 v[192:195], a[8:9], v[128:129], 0   // 00000000C8A4: D3D700C0 0A030108
	buffer_load_dwordx4 a[104:107], v48, s[12:15], 0 offen     // 00000000C8AC: E05C1000 80836830
	v_mfma_i32_16x16x32_i8 v[192:195], a[10:11], v[130:131], v[192:195]// 00000000C8B4: D3D700C0 0F03050A
	ds_read_b32 v72, v4 offset:10752                           // 00000000C8BC: D86C2A00 48000004
	ds_read_b32 v73, v4 offset:15104                           // 00000000C8C4: D86C3B00 49000004
	v_mfma_i32_16x16x32_i8 v[196:199], a[8:9], v[152:153], 0   // 00000000C8CC: D3D700C4 0A033108
	v_mfma_i32_16x16x32_i8 v[196:199], a[10:11], v[154:155], v[196:199]// 00000000C8D4: D3D700C4 0F13350A
	ds_read_b32 v74, v4 offset:10784                           // 00000000C8DC: D86C2A20 4A000004
	ds_read_b32 v75, v4 offset:15136                           // 00000000C8E4: D86C3B20 4B000004
	v_mfma_i32_16x16x32_i8 v[200:203], a[12:13], v[128:129], 0 // 00000000C8EC: D3D700C8 0A03010C
	buffer_load_dwordx4 a[108:111], v49, s[12:15], 0 offen     // 00000000C8F4: E05C1000 80836C31
	s_add_u32 s12, s78, s12                                    // 00000000C8FC: 800C0C4E
	s_addc_u32 s13, 0, s13                                     // 00000000C900: 820D0D80
	v_mfma_i32_16x16x32_i8 v[200:203], a[14:15], v[130:131], v[200:203]// 00000000C904: D3D700C8 0F23050E
	ds_read_b32 v76, v4 offset:10816                           // 00000000C90C: D86C2A40 4C000004
	ds_read_b32 v77, v4 offset:15168                           // 00000000C914: D86C3B40 4D000004
	v_mfma_i32_16x16x32_i8 v[204:207], a[12:13], v[152:153], 0 // 00000000C91C: D3D700CC 0A03310C
	v_mfma_i32_16x16x32_i8 v[204:207], a[14:15], v[154:155], v[204:207]// 00000000C924: D3D700CC 0F33350E
	ds_read_b32 v78, v4 offset:10848                           // 00000000C92C: D86C2A60 4E000004
	ds_read_b32 v79, v4 offset:15200                           // 00000000C934: D86C3B60 4F000004
	s_waitcnt vmcnt(21)                                        // 00000000C93C: BF8C4F75
	v_mfma_i32_16x16x32_i8 v[176:179], a[16:17], v[132:133], v[176:179]// 00000000C940: D3D700B0 0EC30910
	buffer_load_dwordx4 a[112:115], v46, s[12:15], 0 offen     // 00000000C948: E05C1000 8083702E
	v_mfma_i32_16x16x32_i8 v[176:179], a[18:19], v[134:135], v[176:179]// 00000000C950: D3D700B0 0EC30D12
	v_mfma_i32_16x16x32_i8 v[180:183], a[16:17], v[156:157], v[180:183]// 00000000C958: D3D700B4 0ED33910
	v_mfma_i32_16x16x32_i8 v[180:183], a[18:19], v[158:159], v[180:183]// 00000000C960: D3D700B4 0ED33D12
	v_mfma_i32_16x16x32_i8 v[184:187], a[20:21], v[132:133], v[184:187]// 00000000C968: D3D700B8 0EE30914
	buffer_load_dwordx4 a[116:119], v47, s[12:15], 0 offen     // 00000000C970: E05C1000 8083742F
	v_mfma_i32_16x16x32_i8 v[184:187], a[22:23], v[134:135], v[184:187]// 00000000C978: D3D700B8 0EE30D16
	v_mfma_i32_16x16x32_i8 v[188:191], a[20:21], v[156:157], v[188:191]// 00000000C980: D3D700BC 0EF33914
	v_mfma_i32_16x16x32_i8 v[188:191], a[22:23], v[158:159], v[188:191]// 00000000C988: D3D700BC 0EF33D16
	v_mfma_i32_16x16x32_i8 v[192:195], a[24:25], v[132:133], v[192:195]// 00000000C990: D3D700C0 0F030918
	buffer_load_dwordx4 a[120:123], v48, s[12:15], 0 offen     // 00000000C998: E05C1000 80837830
	v_mfma_i32_16x16x32_i8 v[192:195], a[26:27], v[134:135], v[192:195]// 00000000C9A0: D3D700C0 0F030D1A
	v_mfma_i32_16x16x32_i8 v[196:199], a[24:25], v[156:157], v[196:199]// 00000000C9A8: D3D700C4 0F133918
	v_mfma_i32_16x16x32_i8 v[196:199], a[26:27], v[158:159], v[196:199]// 00000000C9B0: D3D700C4 0F133D1A
	v_mfma_i32_16x16x32_i8 v[200:203], a[28:29], v[132:133], v[200:203]// 00000000C9B8: D3D700C8 0F23091C
	buffer_load_dwordx4 a[124:127], v49, s[12:15], 0 offen     // 00000000C9C0: E05C1000 80837C31
	s_add_u32 s12, s78, s12                                    // 00000000C9C8: 800C0C4E
	s_addc_u32 s13, 0, s13                                     // 00000000C9CC: 820D0D80
	v_mfma_i32_16x16x32_i8 v[200:203], a[30:31], v[134:135], v[200:203]// 00000000C9D0: D3D700C8 0F230D1E
	v_mfma_i32_16x16x32_i8 v[204:207], a[28:29], v[156:157], v[204:207]// 00000000C9D8: D3D700CC 0F33391C
	v_mfma_i32_16x16x32_i8 v[204:207], a[30:31], v[158:159], v[204:207]// 00000000C9E0: D3D700CC 0F333D1E
	s_waitcnt vmcnt(21)                                        // 00000000C9E8: BF8C4F75
	v_mfma_i32_16x16x32_i8 v[176:179], a[32:33], v[136:137], v[176:179]// 00000000C9EC: D3D700B0 0EC31120
	buffer_load_dwordx4 a[128:131], v46, s[12:15], 0 offen     // 00000000C9F4: E05C1000 8083802E
	v_mfma_i32_16x16x32_i8 v[176:179], a[34:35], v[138:139], v[176:179]// 00000000C9FC: D3D700B0 0EC31522
	ds_write_b64 v3, v[208:209] offset:19456                   // 00000000CA04: D89A4C00 0000D003
	v_mfma_i32_16x16x32_i8 v[180:183], a[32:33], v[160:161], v[180:183]// 00000000CA0C: D3D700B4 0ED34120
	v_mfma_i32_16x16x32_i8 v[180:183], a[34:35], v[162:163], v[180:183]// 00000000CA14: D3D700B4 0ED34522
	ds_write_b64 v3, v[210:211] offset:28160                   // 00000000CA1C: D89A6E00 0000D203
	v_mfma_i32_16x16x32_i8 v[184:187], a[36:37], v[136:137], v[184:187]// 00000000CA24: D3D700B8 0EE31124
	buffer_load_dwordx4 a[132:135], v47, s[12:15], 0 offen     // 00000000CA2C: E05C1000 8083842F
	v_mfma_i32_16x16x32_i8 v[184:187], a[38:39], v[138:139], v[184:187]// 00000000CA34: D3D700B8 0EE31526
	ds_write_b64 v3, v[212:213] offset:21632                   // 00000000CA3C: D89A5480 0000D403
	v_mfma_i32_16x16x32_i8 v[188:191], a[36:37], v[160:161], v[188:191]// 00000000CA44: D3D700BC 0EF34124
	v_mfma_i32_16x16x32_i8 v[188:191], a[38:39], v[162:163], v[188:191]// 00000000CA4C: D3D700BC 0EF34526
	ds_write_b64 v3, v[214:215] offset:30336                   // 00000000CA54: D89A7680 0000D603
	v_mfma_i32_16x16x32_i8 v[192:195], a[40:41], v[136:137], v[192:195]// 00000000CA5C: D3D700C0 0F031128
	buffer_load_dwordx4 a[136:139], v48, s[12:15], 0 offen     // 00000000CA64: E05C1000 80838830
	v_mfma_i32_16x16x32_i8 v[192:195], a[42:43], v[138:139], v[192:195]// 00000000CA6C: D3D700C0 0F03152A
	ds_write_b64 v3, v[216:217] offset:23808                   // 00000000CA74: D89A5D00 0000D803
	v_mfma_i32_16x16x32_i8 v[196:199], a[40:41], v[160:161], v[196:199]// 00000000CA7C: D3D700C4 0F134128
	v_mfma_i32_16x16x32_i8 v[196:199], a[42:43], v[162:163], v[196:199]// 00000000CA84: D3D700C4 0F13452A
	ds_write_b64 v3, v[218:219] offset:32512                   // 00000000CA8C: D89A7F00 0000DA03
	v_mfma_i32_16x16x32_i8 v[200:203], a[44:45], v[136:137], v[200:203]// 00000000CA94: D3D700C8 0F23112C
	buffer_load_dwordx4 a[140:143], v49, s[12:15], 0 offen     // 00000000CA9C: E05C1000 80838C31
	s_add_u32 s12, s78, s12                                    // 00000000CAA4: 800C0C4E
	s_addc_u32 s13, 0, s13                                     // 00000000CAA8: 820D0D80
	v_mfma_i32_16x16x32_i8 v[200:203], a[46:47], v[138:139], v[200:203]// 00000000CAAC: D3D700C8 0F23152E
	ds_write_b64 v3, v[220:221] offset:25984                   // 00000000CAB4: D89A6580 0000DC03
	v_mfma_i32_16x16x32_i8 v[204:207], a[44:45], v[160:161], v[204:207]// 00000000CABC: D3D700CC 0F33412C
	v_mfma_i32_16x16x32_i8 v[204:207], a[46:47], v[162:163], v[204:207]// 00000000CAC4: D3D700CC 0F33452E
	ds_write_b64 v3, v[222:223] offset:34688                   // 00000000CACC: D89A8780 0000DE03
	s_waitcnt vmcnt(21)                                        // 00000000CAD4: BF8C4F75
	v_mfma_i32_16x16x32_i8 v[176:179], a[48:49], v[140:141], v[176:179]// 00000000CAD8: D3D700B0 0EC31930
	buffer_load_dwordx4 a[144:147], v46, s[12:15], 0 offen     // 00000000CAE0: E05C1000 8083902E
	v_mfma_i32_16x16x32_i8 v[176:179], a[50:51], v[142:143], v[176:179]// 00000000CAE8: D3D700B0 0EC31D32
	v_mfma_i32_16x16x32_i8 v[180:183], a[48:49], v[164:165], v[180:183]// 00000000CAF0: D3D700B4 0ED34930
	v_mfma_i32_16x16x32_i8 v[180:183], a[50:51], v[166:167], v[180:183]// 00000000CAF8: D3D700B4 0ED34D32
	v_mfma_i32_16x16x32_i8 v[184:187], a[52:53], v[140:141], v[184:187]// 00000000CB00: D3D700B8 0EE31934
	buffer_load_dwordx4 a[148:151], v47, s[12:15], 0 offen     // 00000000CB08: E05C1000 8083942F
	v_mfma_i32_16x16x32_i8 v[184:187], a[54:55], v[142:143], v[184:187]// 00000000CB10: D3D700B8 0EE31D36
	v_mfma_i32_16x16x32_i8 v[188:191], a[52:53], v[164:165], v[188:191]// 00000000CB18: D3D700BC 0EF34934
	v_mfma_i32_16x16x32_i8 v[188:191], a[54:55], v[166:167], v[188:191]// 00000000CB20: D3D700BC 0EF34D36
	v_mfma_i32_16x16x32_i8 v[192:195], a[56:57], v[140:141], v[192:195]// 00000000CB28: D3D700C0 0F031938
	buffer_load_dwordx4 a[152:155], v48, s[12:15], 0 offen     // 00000000CB30: E05C1000 80839830
	v_mfma_i32_16x16x32_i8 v[192:195], a[58:59], v[142:143], v[192:195]// 00000000CB38: D3D700C0 0F031D3A
	v_mfma_i32_16x16x32_i8 v[196:199], a[56:57], v[164:165], v[196:199]// 00000000CB40: D3D700C4 0F134938
	v_mfma_i32_16x16x32_i8 v[196:199], a[58:59], v[166:167], v[196:199]// 00000000CB48: D3D700C4 0F134D3A
	v_mfma_i32_16x16x32_i8 v[200:203], a[60:61], v[140:141], v[200:203]// 00000000CB50: D3D700C8 0F23193C
	buffer_load_dwordx4 a[156:159], v49, s[12:15], 0 offen     // 00000000CB58: E05C1000 80839C31
	s_add_u32 s12, s78, s12                                    // 00000000CB60: 800C0C4E
	s_addc_u32 s13, 0, s13                                     // 00000000CB64: 820D0D80
	v_mfma_i32_16x16x32_i8 v[200:203], a[62:63], v[142:143], v[200:203]// 00000000CB68: D3D700C8 0F231D3E
	v_mfma_i32_16x16x32_i8 v[204:207], a[60:61], v[164:165], v[204:207]// 00000000CB70: D3D700CC 0F33493C
	v_mfma_i32_16x16x32_i8 v[204:207], a[62:63], v[166:167], v[204:207]// 00000000CB78: D3D700CC 0F334D3E
	s_waitcnt vmcnt(21)                                        // 00000000CB80: BF8C4F75
	v_mfma_i32_16x16x32_i8 v[176:179], a[64:65], v[144:145], v[176:179]// 00000000CB84: D3D700B0 0EC32140
	buffer_load_dwordx4 a[160:163], v46, s[12:15], 0 offen     // 00000000CB8C: E05C1000 8083A02E
	v_mfma_i32_16x16x32_i8 v[176:179], a[66:67], v[146:147], v[176:179]// 00000000CB94: D3D700B0 0EC32542
	v_mfma_i32_16x16x32_i8 v[180:183], a[64:65], v[168:169], v[180:183]// 00000000CB9C: D3D700B4 0ED35140
	v_mfma_i32_16x16x32_i8 v[180:183], a[66:67], v[170:171], v[180:183]// 00000000CBA4: D3D700B4 0ED35542
	v_mfma_i32_16x16x32_i8 v[184:187], a[68:69], v[144:145], v[184:187]// 00000000CBAC: D3D700B8 0EE32144
	buffer_load_dwordx4 a[164:167], v47, s[12:15], 0 offen     // 00000000CBB4: E05C1000 8083A42F
	v_mfma_i32_16x16x32_i8 v[184:187], a[70:71], v[146:147], v[184:187]// 00000000CBBC: D3D700B8 0EE32546
	v_mfma_i32_16x16x32_i8 v[188:191], a[68:69], v[168:169], v[188:191]// 00000000CBC4: D3D700BC 0EF35144
	v_mfma_i32_16x16x32_i8 v[188:191], a[70:71], v[170:171], v[188:191]// 00000000CBCC: D3D700BC 0EF35546
	v_mfma_i32_16x16x32_i8 v[192:195], a[72:73], v[144:145], v[192:195]// 00000000CBD4: D3D700C0 0F032148
	buffer_load_dwordx4 a[168:171], v48, s[12:15], 0 offen     // 00000000CBDC: E05C1000 8083A830
	v_mfma_i32_16x16x32_i8 v[192:195], a[74:75], v[146:147], v[192:195]// 00000000CBE4: D3D700C0 0F03254A
	v_mfma_i32_16x16x32_i8 v[196:199], a[72:73], v[168:169], v[196:199]// 00000000CBEC: D3D700C4 0F135148
	v_mfma_i32_16x16x32_i8 v[196:199], a[74:75], v[170:171], v[196:199]// 00000000CBF4: D3D700C4 0F13554A
	v_mfma_i32_16x16x32_i8 v[200:203], a[76:77], v[144:145], v[200:203]// 00000000CBFC: D3D700C8 0F23214C
	buffer_load_dwordx4 a[172:175], v49, s[12:15], 0 offen     // 00000000CC04: E05C1000 8083AC31
	s_add_u32 s12, s78, s12                                    // 00000000CC0C: 800C0C4E
	s_addc_u32 s13, 0, s13                                     // 00000000CC10: 820D0D80
	v_mfma_i32_16x16x32_i8 v[200:203], a[78:79], v[146:147], v[200:203]// 00000000CC14: D3D700C8 0F23254E
	v_mfma_i32_16x16x32_i8 v[204:207], a[76:77], v[168:169], v[204:207]// 00000000CC1C: D3D700CC 0F33514C
	v_mfma_i32_16x16x32_i8 v[204:207], a[78:79], v[170:171], v[204:207]// 00000000CC24: D3D700CC 0F33554E
	s_waitcnt vmcnt(20)                                        // 00000000CC2C: BF8C4F74
	v_mfma_i32_16x16x32_i8 v[176:179], a[80:81], v[148:149], v[176:179]// 00000000CC30: D3D700B0 0EC32950
	buffer_load_dwordx4 a[176:179], v46, s[12:15], 0 offen     // 00000000CC38: E05C1000 8083B02E
	v_mfma_i32_16x16x32_i8 v[176:179], a[82:83], v[150:151], v[176:179]// 00000000CC40: D3D700B0 0EC32D52
	v_mfma_i32_16x16x32_i8 v[180:183], a[80:81], v[172:173], v[180:183]// 00000000CC48: D3D700B4 0ED35950
	buffer_load_dword v13, v5, s[16:19], 0 offen               // 00000000CC50: E0501000 80040D05
	v_mfma_i32_16x16x32_i8 v[180:183], a[82:83], v[174:175], v[180:183]// 00000000CC58: D3D700B4 0ED35D52
	v_mfma_i32_16x16x32_i8 v[184:187], a[84:85], v[148:149], v[184:187]// 00000000CC60: D3D700B8 0EE32954
	buffer_load_dwordx4 a[180:183], v47, s[12:15], 0 offen     // 00000000CC68: E05C1000 8083B42F
	v_mfma_i32_16x16x32_i8 v[184:187], a[86:87], v[150:151], v[184:187]// 00000000CC70: D3D700B8 0EE32D56
	v_mfma_i32_16x16x32_i8 v[188:191], a[84:85], v[172:173], v[188:191]// 00000000CC78: D3D700BC 0EF35954
	v_mfma_i32_16x16x32_i8 v[188:191], a[86:87], v[174:175], v[188:191]// 00000000CC80: D3D700BC 0EF35D56
	v_mfma_i32_16x16x32_i8 v[192:195], a[88:89], v[148:149], v[192:195]// 00000000CC88: D3D700C0 0F032958
	buffer_load_dwordx4 a[184:187], v48, s[12:15], 0 offen     // 00000000CC90: E05C1000 8083B830
	v_mfma_i32_16x16x32_i8 v[192:195], a[90:91], v[150:151], v[192:195]// 00000000CC98: D3D700C0 0F032D5A
	v_mfma_i32_16x16x32_i8 v[196:199], a[88:89], v[172:173], v[196:199]// 00000000CCA0: D3D700C4 0F135958
	v_mfma_i32_16x16x32_i8 v[196:199], a[90:91], v[174:175], v[196:199]// 00000000CCA8: D3D700C4 0F135D5A
	v_mfma_i32_16x16x32_i8 v[200:203], a[92:93], v[148:149], v[200:203]// 00000000CCB0: D3D700C8 0F23295C
	buffer_load_dwordx4 a[188:191], v49, s[12:15], 0 offen     // 00000000CCB8: E05C1000 8083BC31
	v_mfma_i32_16x16x32_i8 v[200:203], a[94:95], v[150:151], v[200:203]// 00000000CCC0: D3D700C8 0F232D5E
	v_mfma_i32_16x16x32_i8 v[204:207], a[92:93], v[172:173], v[204:207]// 00000000CCC8: D3D700CC 0F33595C
	v_mfma_i32_16x16x32_i8 v[204:207], a[94:95], v[174:175], v[204:207]// 00000000CCD0: D3D700CC 0F335D5E
	s_add_u32 s60, 0x200, s80                                  // 00000000CCD8: 803C50FF 00000200
	s_cmp_lt_u32 s60, s81                                      // 00000000CCE0: BF0A513C
	s_cselect_b32 s56, s56, 0                                  // 00000000CCE4: 85388038
	s_cselect_b32 s78, s78, 0                                  // 00000000CCE8: 854E804E
	s_cselect_b32 s79, s79, 0                                  // 00000000CCEC: 854F804F
	s_add_u32 s12, s56, s12                                    // 00000000CCF0: 800C0C38
	s_addc_u32 s13, 0, s13                                     // 00000000CCF4: 820D0D80
	s_add_u32 s16, s79, s16                                    // 00000000CCF8: 8010104F
	s_addc_u32 s17, 0, s17                                     // 00000000CCFC: 82111180
	v_mov_b32_e32 v42, v24                                     // 00000000CD00: 7E540318
	v_mov_b32_e32 v44, v20                                     // 00000000CD04: 7E580314
	v_mov_b32_e32 v43, v42                                     // 00000000CD08: 7E56032A
	v_mov_b32_e32 v45, v44                                     // 00000000CD0C: 7E5A032C
	v_cvt_f32_i32_e32 v176, v176                               // 00000000CD10: 7F600BB0
	v_cvt_f32_i32_e32 v177, v177                               // 00000000CD14: 7F620BB1
	v_cvt_f32_i32_e32 v178, v178                               // 00000000CD18: 7F640BB2
	v_cvt_f32_i32_e32 v179, v179                               // 00000000CD1C: 7F660BB3
	v_pk_mul_f32 v[176:177], v[42:43], v[176:177]              // 00000000CD20: D3B140B0 1803612A
	v_pk_mul_f32 v[178:179], v[42:43], v[178:179]              // 00000000CD28: D3B140B2 1803652A
	v_mul_f32_dpp v176, v12, v176 row_newbcast:0 row_mask:0xf bank_mask:0xf// 00000000CD30: 0B6160FA FF01500C
	v_mul_f32_dpp v177, v12, v177 row_newbcast:1 row_mask:0xf bank_mask:0xf// 00000000CD38: 0B6362FA FF01510C
	v_mul_f32_dpp v178, v12, v178 row_newbcast:2 row_mask:0xf bank_mask:0xf// 00000000CD40: 0B6564FA FF01520C
	v_mul_f32_dpp v179, v12, v179 row_newbcast:3 row_mask:0xf bank_mask:0xf// 00000000CD48: 0B6766FA FF01530C
	v_pk_mul_f32 v[176:177], v[44:45], v[176:177]              // 00000000CD50: D3B140B0 1803612C
	v_pk_mul_f32 v[178:179], v[44:45], v[178:179]              // 00000000CD58: D3B140B2 1803652C
	v_cvt_f32_i32_e32 v184, v184                               // 00000000CD60: 7F700BB8
	v_cvt_f32_i32_e32 v185, v185                               // 00000000CD64: 7F720BB9
	v_cvt_f32_i32_e32 v186, v186                               // 00000000CD68: 7F740BBA
	v_cvt_f32_i32_e32 v187, v187                               // 00000000CD6C: 7F760BBB
	v_pk_mul_f32 v[184:185], v[42:43], v[184:185]              // 00000000CD70: D3B140B8 1803712A
	v_pk_mul_f32 v[186:187], v[42:43], v[186:187]              // 00000000CD78: D3B140BA 1803752A
	v_mul_f32_dpp v184, v12, v184 row_newbcast:4 row_mask:0xf bank_mask:0xf// 00000000CD80: 0B7170FA FF01540C
	v_mul_f32_dpp v185, v12, v185 row_newbcast:5 row_mask:0xf bank_mask:0xf// 00000000CD88: 0B7372FA FF01550C
	v_mul_f32_dpp v186, v12, v186 row_newbcast:6 row_mask:0xf bank_mask:0xf// 00000000CD90: 0B7574FA FF01560C
	v_mul_f32_dpp v187, v12, v187 row_newbcast:7 row_mask:0xf bank_mask:0xf// 00000000CD98: 0B7776FA FF01570C
	v_pk_mul_f32 v[184:185], v[44:45], v[184:185]              // 00000000CDA0: D3B140B8 1803712C
	v_pk_mul_f32 v[186:187], v[44:45], v[186:187]              // 00000000CDA8: D3B140BA 1803752C
	v_cvt_f32_i32_e32 v192, v192                               // 00000000CDB0: 7F800BC0
	v_cvt_f32_i32_e32 v193, v193                               // 00000000CDB4: 7F820BC1
	v_cvt_f32_i32_e32 v194, v194                               // 00000000CDB8: 7F840BC2
	v_cvt_f32_i32_e32 v195, v195                               // 00000000CDBC: 7F860BC3
	v_pk_mul_f32 v[192:193], v[42:43], v[192:193]              // 00000000CDC0: D3B140C0 1803812A
	v_pk_mul_f32 v[194:195], v[42:43], v[194:195]              // 00000000CDC8: D3B140C2 1803852A
	v_mul_f32_dpp v192, v12, v192 row_newbcast:8 row_mask:0xf bank_mask:0xf// 00000000CDD0: 0B8180FA FF01580C
	v_mul_f32_dpp v193, v12, v193 row_newbcast:9 row_mask:0xf bank_mask:0xf// 00000000CDD8: 0B8382FA FF01590C
	v_mul_f32_dpp v194, v12, v194 row_newbcast:10 row_mask:0xf bank_mask:0xf// 00000000CDE0: 0B8584FA FF015A0C
	v_mul_f32_dpp v195, v12, v195 row_newbcast:11 row_mask:0xf bank_mask:0xf// 00000000CDE8: 0B8786FA FF015B0C
	v_pk_mul_f32 v[192:193], v[44:45], v[192:193]              // 00000000CDF0: D3B140C0 1803812C
	v_pk_mul_f32 v[194:195], v[44:45], v[194:195]              // 00000000CDF8: D3B140C2 1803852C
	v_cvt_f32_i32_e32 v200, v200                               // 00000000CE00: 7F900BC8
	v_cvt_f32_i32_e32 v201, v201                               // 00000000CE04: 7F920BC9
	v_cvt_f32_i32_e32 v202, v202                               // 00000000CE08: 7F940BCA
	v_cvt_f32_i32_e32 v203, v203                               // 00000000CE0C: 7F960BCB
	v_pk_mul_f32 v[200:201], v[42:43], v[200:201]              // 00000000CE10: D3B140C8 1803912A
	v_pk_mul_f32 v[202:203], v[42:43], v[202:203]              // 00000000CE18: D3B140CA 1803952A
	v_mul_f32_dpp v200, v12, v200 row_newbcast:12 row_mask:0xf bank_mask:0xf// 00000000CE20: 0B9190FA FF015C0C
	v_mul_f32_dpp v201, v12, v201 row_newbcast:13 row_mask:0xf bank_mask:0xf// 00000000CE28: 0B9392FA FF015D0C
	v_mul_f32_dpp v202, v12, v202 row_newbcast:14 row_mask:0xf bank_mask:0xf// 00000000CE30: 0B9594FA FF015E0C
	v_mul_f32_dpp v203, v12, v203 row_newbcast:15 row_mask:0xf bank_mask:0xf// 00000000CE38: 0B9796FA FF015F0C
	v_pk_mul_f32 v[200:201], v[44:45], v[200:201]              // 00000000CE40: D3B140C8 1803912C
	v_pk_mul_f32 v[202:203], v[44:45], v[202:203]              // 00000000CE48: D3B140CA 1803952C
	v_mov_b32_e32 v42, v25                                     // 00000000CE50: 7E540319
	v_mov_b32_e32 v44, v21                                     // 00000000CE54: 7E580315
	v_mov_b32_e32 v43, v42                                     // 00000000CE58: 7E56032A
	v_mov_b32_e32 v45, v44                                     // 00000000CE5C: 7E5A032C
	v_cvt_f32_i32_e32 v180, v180                               // 00000000CE60: 7F680BB4
	v_cvt_f32_i32_e32 v181, v181                               // 00000000CE64: 7F6A0BB5
	v_cvt_f32_i32_e32 v182, v182                               // 00000000CE68: 7F6C0BB6
	v_cvt_f32_i32_e32 v183, v183                               // 00000000CE6C: 7F6E0BB7
	v_pk_mul_f32 v[180:181], v[42:43], v[180:181]              // 00000000CE70: D3B140B4 1803692A
	v_pk_mul_f32 v[182:183], v[42:43], v[182:183]              // 00000000CE78: D3B140B6 18036D2A
	v_mul_f32_dpp v180, v12, v180 row_newbcast:0 row_mask:0xf bank_mask:0xf// 00000000CE80: 0B6968FA FF01500C
	v_mul_f32_dpp v181, v12, v181 row_newbcast:1 row_mask:0xf bank_mask:0xf// 00000000CE88: 0B6B6AFA FF01510C
	v_mul_f32_dpp v182, v12, v182 row_newbcast:2 row_mask:0xf bank_mask:0xf// 00000000CE90: 0B6D6CFA FF01520C
	v_mul_f32_dpp v183, v12, v183 row_newbcast:3 row_mask:0xf bank_mask:0xf// 00000000CE98: 0B6F6EFA FF01530C
	v_pk_mul_f32 v[180:181], v[44:45], v[180:181]              // 00000000CEA0: D3B140B4 1803692C
	v_pk_mul_f32 v[182:183], v[44:45], v[182:183]              // 00000000CEA8: D3B140B6 18036D2C
	v_cvt_f32_i32_e32 v188, v188                               // 00000000CEB0: 7F780BBC
	v_cvt_f32_i32_e32 v189, v189                               // 00000000CEB4: 7F7A0BBD
	v_cvt_f32_i32_e32 v190, v190                               // 00000000CEB8: 7F7C0BBE
	v_cvt_f32_i32_e32 v191, v191                               // 00000000CEBC: 7F7E0BBF
	v_pk_mul_f32 v[188:189], v[42:43], v[188:189]              // 00000000CEC0: D3B140BC 1803792A
	v_pk_mul_f32 v[190:191], v[42:43], v[190:191]              // 00000000CEC8: D3B140BE 18037D2A
	v_mul_f32_dpp v188, v12, v188 row_newbcast:4 row_mask:0xf bank_mask:0xf// 00000000CED0: 0B7978FA FF01540C
	v_mul_f32_dpp v189, v12, v189 row_newbcast:5 row_mask:0xf bank_mask:0xf// 00000000CED8: 0B7B7AFA FF01550C
	v_mul_f32_dpp v190, v12, v190 row_newbcast:6 row_mask:0xf bank_mask:0xf// 00000000CEE0: 0B7D7CFA FF01560C
	v_mul_f32_dpp v191, v12, v191 row_newbcast:7 row_mask:0xf bank_mask:0xf// 00000000CEE8: 0B7F7EFA FF01570C
	v_pk_mul_f32 v[188:189], v[44:45], v[188:189]              // 00000000CEF0: D3B140BC 1803792C
	v_pk_mul_f32 v[190:191], v[44:45], v[190:191]              // 00000000CEF8: D3B140BE 18037D2C
	v_cvt_f32_i32_e32 v196, v196                               // 00000000CF00: 7F880BC4
	v_cvt_f32_i32_e32 v197, v197                               // 00000000CF04: 7F8A0BC5
	v_cvt_f32_i32_e32 v198, v198                               // 00000000CF08: 7F8C0BC6
	v_cvt_f32_i32_e32 v199, v199                               // 00000000CF0C: 7F8E0BC7
	v_pk_mul_f32 v[196:197], v[42:43], v[196:197]              // 00000000CF10: D3B140C4 1803892A
	v_pk_mul_f32 v[198:199], v[42:43], v[198:199]              // 00000000CF18: D3B140C6 18038D2A
	v_mul_f32_dpp v196, v12, v196 row_newbcast:8 row_mask:0xf bank_mask:0xf// 00000000CF20: 0B8988FA FF01580C
	v_mul_f32_dpp v197, v12, v197 row_newbcast:9 row_mask:0xf bank_mask:0xf// 00000000CF28: 0B8B8AFA FF01590C
	v_mul_f32_dpp v198, v12, v198 row_newbcast:10 row_mask:0xf bank_mask:0xf// 00000000CF30: 0B8D8CFA FF015A0C
	v_mul_f32_dpp v199, v12, v199 row_newbcast:11 row_mask:0xf bank_mask:0xf// 00000000CF38: 0B8F8EFA FF015B0C
	v_pk_mul_f32 v[196:197], v[44:45], v[196:197]              // 00000000CF40: D3B140C4 1803892C
	v_pk_mul_f32 v[198:199], v[44:45], v[198:199]              // 00000000CF48: D3B140C6 18038D2C
	v_cvt_f32_i32_e32 v204, v204                               // 00000000CF50: 7F980BCC
	v_cvt_f32_i32_e32 v205, v205                               // 00000000CF54: 7F9A0BCD
	v_cvt_f32_i32_e32 v206, v206                               // 00000000CF58: 7F9C0BCE
	v_cvt_f32_i32_e32 v207, v207                               // 00000000CF5C: 7F9E0BCF
	v_pk_mul_f32 v[204:205], v[42:43], v[204:205]              // 00000000CF60: D3B140CC 1803992A
	v_pk_mul_f32 v[206:207], v[42:43], v[206:207]              // 00000000CF68: D3B140CE 18039D2A
	v_mul_f32_dpp v204, v12, v204 row_newbcast:12 row_mask:0xf bank_mask:0xf// 00000000CF70: 0B9998FA FF015C0C
	v_mul_f32_dpp v205, v12, v205 row_newbcast:13 row_mask:0xf bank_mask:0xf// 00000000CF78: 0B9B9AFA FF015D0C
	v_mul_f32_dpp v206, v12, v206 row_newbcast:14 row_mask:0xf bank_mask:0xf// 00000000CF80: 0B9D9CFA FF015E0C
	v_mul_f32_dpp v207, v12, v207 row_newbcast:15 row_mask:0xf bank_mask:0xf// 00000000CF88: 0B9F9EFA FF015F0C
	v_pk_mul_f32 v[204:205], v[44:45], v[204:205]              // 00000000CF90: D3B140CC 1803992C
	v_pk_mul_f32 v[206:207], v[44:45], v[206:207]              // 00000000CF98: D3B140CE 18039D2C
	v_cmp_u_f32_e64 s[48:49], v176, v176                       // 00000000CFA0: D0480030 000361B0
	v_add3_u32 v50, v176, v53, 1                               // 00000000CFA8: D1FF0032 02066BB0
	v_cndmask_b32_e64 v42, v50, v52, s[48:49]                  // 00000000CFB0: D100002A 00C26932
	v_cmp_u_f32_e64 s[48:49], v177, v177                       // 00000000CFB8: D0480030 000363B1
	v_add3_u32 v50, v177, v53, 1                               // 00000000CFC0: D1FF0032 02066BB1
	v_cndmask_b32_e64 v43, v50, v52, s[48:49]                  // 00000000CFC8: D100002B 00C26932
	v_perm_b32 v176, v43, v42, s52                             // 00000000CFD0: D1ED00B0 00D2552B
	v_cmp_u_f32_e64 s[48:49], v178, v178                       // 00000000CFD8: D0480030 000365B2
	v_add3_u32 v50, v178, v53, 1                               // 00000000CFE0: D1FF0032 02066BB2
	v_cndmask_b32_e64 v42, v50, v52, s[48:49]                  // 00000000CFE8: D100002A 00C26932
	v_cmp_u_f32_e64 s[48:49], v179, v179                       // 00000000CFF0: D0480030 000367B3
	v_add3_u32 v50, v179, v53, 1                               // 00000000CFF8: D1FF0032 02066BB3
	v_cndmask_b32_e64 v43, v50, v52, s[48:49]                  // 00000000D000: D100002B 00C26932
	v_perm_b32 v177, v43, v42, s52                             // 00000000D008: D1ED00B1 00D2552B
	v_cmp_u_f32_e64 s[48:49], v180, v180                       // 00000000D010: D0480030 000369B4
	v_add3_u32 v50, v180, v53, 1                               // 00000000D018: D1FF0032 02066BB4
	v_cndmask_b32_e64 v42, v50, v52, s[48:49]                  // 00000000D020: D100002A 00C26932
	v_cmp_u_f32_e64 s[48:49], v181, v181                       // 00000000D028: D0480030 00036BB5
	v_add3_u32 v50, v181, v53, 1                               // 00000000D030: D1FF0032 02066BB5
	v_cndmask_b32_e64 v43, v50, v52, s[48:49]                  // 00000000D038: D100002B 00C26932
	v_perm_b32 v178, v43, v42, s52                             // 00000000D040: D1ED00B2 00D2552B
	v_cmp_u_f32_e64 s[48:49], v182, v182                       // 00000000D048: D0480030 00036DB6
	v_add3_u32 v50, v182, v53, 1                               // 00000000D050: D1FF0032 02066BB6
	v_cndmask_b32_e64 v42, v50, v52, s[48:49]                  // 00000000D058: D100002A 00C26932
	v_cmp_u_f32_e64 s[48:49], v183, v183                       // 00000000D060: D0480030 00036FB7
	v_add3_u32 v50, v183, v53, 1                               // 00000000D068: D1FF0032 02066BB7
	v_cndmask_b32_e64 v43, v50, v52, s[48:49]                  // 00000000D070: D100002B 00C26932
	v_perm_b32 v179, v43, v42, s52                             // 00000000D078: D1ED00B3 00D2552B
	v_cmp_u_f32_e64 s[48:49], v184, v184                       // 00000000D080: D0480030 000371B8
	v_add3_u32 v50, v184, v53, 1                               // 00000000D088: D1FF0032 02066BB8
	v_cndmask_b32_e64 v42, v50, v52, s[48:49]                  // 00000000D090: D100002A 00C26932
	v_cmp_u_f32_e64 s[48:49], v185, v185                       // 00000000D098: D0480030 000373B9
	v_add3_u32 v50, v185, v53, 1                               // 00000000D0A0: D1FF0032 02066BB9
	v_cndmask_b32_e64 v43, v50, v52, s[48:49]                  // 00000000D0A8: D100002B 00C26932
	v_perm_b32 v180, v43, v42, s52                             // 00000000D0B0: D1ED00B4 00D2552B
	v_cmp_u_f32_e64 s[48:49], v186, v186                       // 00000000D0B8: D0480030 000375BA
	v_add3_u32 v50, v186, v53, 1                               // 00000000D0C0: D1FF0032 02066BBA
	v_cndmask_b32_e64 v42, v50, v52, s[48:49]                  // 00000000D0C8: D100002A 00C26932
	v_cmp_u_f32_e64 s[48:49], v187, v187                       // 00000000D0D0: D0480030 000377BB
	v_add3_u32 v50, v187, v53, 1                               // 00000000D0D8: D1FF0032 02066BBB
	v_cndmask_b32_e64 v43, v50, v52, s[48:49]                  // 00000000D0E0: D100002B 00C26932
	v_perm_b32 v181, v43, v42, s52                             // 00000000D0E8: D1ED00B5 00D2552B
	v_cmp_u_f32_e64 s[48:49], v188, v188                       // 00000000D0F0: D0480030 000379BC
	v_add3_u32 v50, v188, v53, 1                               // 00000000D0F8: D1FF0032 02066BBC
	v_cndmask_b32_e64 v42, v50, v52, s[48:49]                  // 00000000D100: D100002A 00C26932
	v_cmp_u_f32_e64 s[48:49], v189, v189                       // 00000000D108: D0480030 00037BBD
	v_add3_u32 v50, v189, v53, 1                               // 00000000D110: D1FF0032 02066BBD
	v_cndmask_b32_e64 v43, v50, v52, s[48:49]                  // 00000000D118: D100002B 00C26932
	v_perm_b32 v182, v43, v42, s52                             // 00000000D120: D1ED00B6 00D2552B
	v_cmp_u_f32_e64 s[48:49], v190, v190                       // 00000000D128: D0480030 00037DBE
	v_add3_u32 v50, v190, v53, 1                               // 00000000D130: D1FF0032 02066BBE
	v_cndmask_b32_e64 v42, v50, v52, s[48:49]                  // 00000000D138: D100002A 00C26932
	v_cmp_u_f32_e64 s[48:49], v191, v191                       // 00000000D140: D0480030 00037FBF
	v_add3_u32 v50, v191, v53, 1                               // 00000000D148: D1FF0032 02066BBF
	v_cndmask_b32_e64 v43, v50, v52, s[48:49]                  // 00000000D150: D100002B 00C26932
	v_perm_b32 v183, v43, v42, s52                             // 00000000D158: D1ED00B7 00D2552B
	v_cmp_u_f32_e64 s[48:49], v192, v192                       // 00000000D160: D0480030 000381C0
	v_add3_u32 v50, v192, v53, 1                               // 00000000D168: D1FF0032 02066BC0
	v_cndmask_b32_e64 v42, v50, v52, s[48:49]                  // 00000000D170: D100002A 00C26932
	v_cmp_u_f32_e64 s[48:49], v193, v193                       // 00000000D178: D0480030 000383C1
	v_add3_u32 v50, v193, v53, 1                               // 00000000D180: D1FF0032 02066BC1
	v_cndmask_b32_e64 v43, v50, v52, s[48:49]                  // 00000000D188: D100002B 00C26932
	v_perm_b32 v184, v43, v42, s52                             // 00000000D190: D1ED00B8 00D2552B
	v_cmp_u_f32_e64 s[48:49], v194, v194                       // 00000000D198: D0480030 000385C2
	v_add3_u32 v50, v194, v53, 1                               // 00000000D1A0: D1FF0032 02066BC2
	v_cndmask_b32_e64 v42, v50, v52, s[48:49]                  // 00000000D1A8: D100002A 00C26932
	v_cmp_u_f32_e64 s[48:49], v195, v195                       // 00000000D1B0: D0480030 000387C3
	v_add3_u32 v50, v195, v53, 1                               // 00000000D1B8: D1FF0032 02066BC3
	v_cndmask_b32_e64 v43, v50, v52, s[48:49]                  // 00000000D1C0: D100002B 00C26932
	v_perm_b32 v185, v43, v42, s52                             // 00000000D1C8: D1ED00B9 00D2552B
	v_cmp_u_f32_e64 s[48:49], v196, v196                       // 00000000D1D0: D0480030 000389C4
	v_add3_u32 v50, v196, v53, 1                               // 00000000D1D8: D1FF0032 02066BC4
	v_cndmask_b32_e64 v42, v50, v52, s[48:49]                  // 00000000D1E0: D100002A 00C26932
	v_cmp_u_f32_e64 s[48:49], v197, v197                       // 00000000D1E8: D0480030 00038BC5
	v_add3_u32 v50, v197, v53, 1                               // 00000000D1F0: D1FF0032 02066BC5
	v_cndmask_b32_e64 v43, v50, v52, s[48:49]                  // 00000000D1F8: D100002B 00C26932
	v_perm_b32 v186, v43, v42, s52                             // 00000000D200: D1ED00BA 00D2552B
	v_cmp_u_f32_e64 s[48:49], v198, v198                       // 00000000D208: D0480030 00038DC6
	v_add3_u32 v50, v198, v53, 1                               // 00000000D210: D1FF0032 02066BC6
	v_cndmask_b32_e64 v42, v50, v52, s[48:49]                  // 00000000D218: D100002A 00C26932
	v_cmp_u_f32_e64 s[48:49], v199, v199                       // 00000000D220: D0480030 00038FC7
	v_add3_u32 v50, v199, v53, 1                               // 00000000D228: D1FF0032 02066BC7
	v_cndmask_b32_e64 v43, v50, v52, s[48:49]                  // 00000000D230: D100002B 00C26932
	v_perm_b32 v187, v43, v42, s52                             // 00000000D238: D1ED00BB 00D2552B
	v_cmp_u_f32_e64 s[48:49], v200, v200                       // 00000000D240: D0480030 000391C8
	v_add3_u32 v50, v200, v53, 1                               // 00000000D248: D1FF0032 02066BC8
	v_cndmask_b32_e64 v42, v50, v52, s[48:49]                  // 00000000D250: D100002A 00C26932
	v_cmp_u_f32_e64 s[48:49], v201, v201                       // 00000000D258: D0480030 000393C9
	v_add3_u32 v50, v201, v53, 1                               // 00000000D260: D1FF0032 02066BC9
	v_cndmask_b32_e64 v43, v50, v52, s[48:49]                  // 00000000D268: D100002B 00C26932
	v_perm_b32 v188, v43, v42, s52                             // 00000000D270: D1ED00BC 00D2552B
	v_cmp_u_f32_e64 s[48:49], v202, v202                       // 00000000D278: D0480030 000395CA
	v_add3_u32 v50, v202, v53, 1                               // 00000000D280: D1FF0032 02066BCA
	v_cndmask_b32_e64 v42, v50, v52, s[48:49]                  // 00000000D288: D100002A 00C26932
	v_cmp_u_f32_e64 s[48:49], v203, v203                       // 00000000D290: D0480030 000397CB
	v_add3_u32 v50, v203, v53, 1                               // 00000000D298: D1FF0032 02066BCB
	v_cndmask_b32_e64 v43, v50, v52, s[48:49]                  // 00000000D2A0: D100002B 00C26932
	v_perm_b32 v189, v43, v42, s52                             // 00000000D2A8: D1ED00BD 00D2552B
	v_cmp_u_f32_e64 s[48:49], v204, v204                       // 00000000D2B0: D0480030 000399CC
	v_add3_u32 v50, v204, v53, 1                               // 00000000D2B8: D1FF0032 02066BCC
	v_cndmask_b32_e64 v42, v50, v52, s[48:49]                  // 00000000D2C0: D100002A 00C26932
	v_cmp_u_f32_e64 s[48:49], v205, v205                       // 00000000D2C8: D0480030 00039BCD
	v_add3_u32 v50, v205, v53, 1                               // 00000000D2D0: D1FF0032 02066BCD
	v_cndmask_b32_e64 v43, v50, v52, s[48:49]                  // 00000000D2D8: D100002B 00C26932
	v_perm_b32 v190, v43, v42, s52                             // 00000000D2E0: D1ED00BE 00D2552B
	v_cmp_u_f32_e64 s[48:49], v206, v206                       // 00000000D2E8: D0480030 00039DCE
	v_add3_u32 v50, v206, v53, 1                               // 00000000D2F0: D1FF0032 02066BCE
	v_cndmask_b32_e64 v42, v50, v52, s[48:49]                  // 00000000D2F8: D100002A 00C26932
	v_cmp_u_f32_e64 s[48:49], v207, v207                       // 00000000D300: D0480030 00039FCF
	v_add3_u32 v50, v207, v53, 1                               // 00000000D308: D1FF0032 02066BCF
	v_cndmask_b32_e64 v43, v50, v52, s[48:49]                  // 00000000D310: D100002B 00C26932
	v_perm_b32 v191, v43, v42, s52                             // 00000000D318: D1ED00BF 00D2552B
	s_cmp_ge_u32 s80, 0x200                                    // 00000000D320: BF09FF50 00000200
	s_cselect_b32 s59, 0x200, s59                              // 00000000D328: 853B3BFF 00000200
	s_setvskip s20, 0                                          // 00000000D330: BF108014
	global_atomic_pk_add_bf16 v80, v64, s[8:9]                 // 00000000D334: DD488000 00084050
	s_setvskip 0, 0                                            // 00000000D33C: BF108080
	s_setvskip s20, 0                                          // 00000000D340: BF108014
	global_atomic_pk_add_bf16 v80, v65, s[8:9] offset:256      // 00000000D344: DD488100 00084150
	s_setvskip 0, 0                                            // 00000000D34C: BF108080
	s_setvskip s20, 1                                          // 00000000D350: BF108114
	global_atomic_pk_add_bf16 v82, v66, s[8:9]                 // 00000000D354: DD488000 00084252
	s_setvskip 0, 0                                            // 00000000D35C: BF108080
	s_setvskip s20, 1                                          // 00000000D360: BF108114
	global_atomic_pk_add_bf16 v82, v67, s[8:9] offset:256      // 00000000D364: DD488100 00084352
	s_setvskip 0, 0                                            // 00000000D36C: BF108080
	s_setvskip s20, 2                                          // 00000000D370: BF108214
	global_atomic_pk_add_bf16 v84, v68, s[8:9]                 // 00000000D374: DD488000 00084454
	s_setvskip 0, 0                                            // 00000000D37C: BF108080
	s_setvskip s20, 2                                          // 00000000D380: BF108214
	global_atomic_pk_add_bf16 v84, v69, s[8:9] offset:256      // 00000000D384: DD488100 00084554
	s_setvskip 0, 0                                            // 00000000D38C: BF108080
	s_setvskip s20, 3                                          // 00000000D390: BF108314
	global_atomic_pk_add_bf16 v86, v70, s[8:9]                 // 00000000D394: DD488000 00084656
	s_setvskip 0, 0                                            // 00000000D39C: BF108080
	s_setvskip s20, 3                                          // 00000000D3A0: BF108314
	global_atomic_pk_add_bf16 v86, v71, s[8:9] offset:256      // 00000000D3A4: DD488100 00084756
	s_setvskip 0, 0                                            // 00000000D3AC: BF108080
	s_setvskip s20, 4                                          // 00000000D3B0: BF108414
	global_atomic_pk_add_bf16 v88, v72, s[8:9]                 // 00000000D3B4: DD488000 00084858
	s_setvskip 0, 0                                            // 00000000D3BC: BF108080
	s_setvskip s20, 4                                          // 00000000D3C0: BF108414
	global_atomic_pk_add_bf16 v88, v73, s[8:9] offset:256      // 00000000D3C4: DD488100 00084958
	s_setvskip 0, 0                                            // 00000000D3CC: BF108080
	s_setvskip s20, 5                                          // 00000000D3D0: BF108514
	global_atomic_pk_add_bf16 v90, v74, s[8:9]                 // 00000000D3D4: DD488000 00084A5A
	s_setvskip 0, 0                                            // 00000000D3DC: BF108080
	s_setvskip s20, 5                                          // 00000000D3E0: BF108514
	global_atomic_pk_add_bf16 v90, v75, s[8:9] offset:256      // 00000000D3E4: DD488100 00084B5A
	s_setvskip 0, 0                                            // 00000000D3EC: BF108080
	s_setvskip s20, 6                                          // 00000000D3F0: BF108614
	global_atomic_pk_add_bf16 v92, v76, s[8:9]                 // 00000000D3F4: DD488000 00084C5C
	s_setvskip 0, 0                                            // 00000000D3FC: BF108080
	s_setvskip s20, 6                                          // 00000000D400: BF108614
	global_atomic_pk_add_bf16 v92, v77, s[8:9] offset:256      // 00000000D404: DD488100 00084D5C
	s_setvskip 0, 0                                            // 00000000D40C: BF108080
	s_setvskip s20, 7                                          // 00000000D410: BF108714
	global_atomic_pk_add_bf16 v94, v78, s[8:9]                 // 00000000D414: DD488000 00084E5E
	s_setvskip 0, 0                                            // 00000000D41C: BF108080
	s_setvskip s20, 7                                          // 00000000D420: BF108714
	global_atomic_pk_add_bf16 v94, v79, s[8:9] offset:256      // 00000000D424: DD488100 00084F5E
	s_setvskip 0, 0                                            // 00000000D42C: BF108080
	s_add_u32 s8, s59, s8                                      // 00000000D430: 8008083B
	s_addc_u32 s9, 0, s9                                       // 00000000D434: 82090980
	s_addk_i32 s80, 0x100                                      // 00000000D438: B7500100
	s_cmp_lt_i32 s80, s81                                      // 00000000D43C: BF045150
	s_cbranch_scc0 label_1855                                  // 00000000D440: BF84EEC4
	s_waitcnt vmcnt(21) lgkmcnt(0)                             // 00000000D444: BF8C4075
	s_barrier                                                  // 00000000D448: BF8A0000
	v_mfma_i32_16x16x32_i8 v[208:211], a[96:97], v[128:129], 0 // 00000000D44C: D3D700D0 0A030160
	buffer_load_dwordx4 a[0:3], v46, s[12:15], 0 offen         // 00000000D454: E05C1000 8083002E
	v_mfma_i32_16x16x32_i8 v[208:211], a[98:99], v[130:131], v[208:211]// 00000000D45C: D3D700D0 0F430562
	ds_read_b32 v64, v4 offset:19456                           // 00000000D464: D86C4C00 40000004
	ds_read_b32 v65, v4 offset:23808                           // 00000000D46C: D86C5D00 41000004
	v_mfma_i32_16x16x32_i8 v[212:215], a[96:97], v[152:153], 0 // 00000000D474: D3D700D4 0A033160
	v_mfma_i32_16x16x32_i8 v[212:215], a[98:99], v[154:155], v[212:215]// 00000000D47C: D3D700D4 0F533562
	ds_read_b32 v66, v4 offset:19488                           // 00000000D484: D86C4C20 42000004
	ds_read_b32 v67, v4 offset:23840                           // 00000000D48C: D86C5D20 43000004
	v_mfma_i32_16x16x32_i8 v[216:219], a[100:101], v[128:129], 0// 00000000D494: D3D700D8 0A030164
	buffer_load_dwordx4 a[4:7], v47, s[12:15], 0 offen         // 00000000D49C: E05C1000 8083042F
	v_mfma_i32_16x16x32_i8 v[216:219], a[102:103], v[130:131], v[216:219]// 00000000D4A4: D3D700D8 0F630566
	ds_read_b32 v68, v4 offset:19520                           // 00000000D4AC: D86C4C40 44000004
	ds_read_b32 v69, v4 offset:23872                           // 00000000D4B4: D86C5D40 45000004
	v_mfma_i32_16x16x32_i8 v[220:223], a[100:101], v[152:153], 0// 00000000D4BC: D3D700DC 0A033164
	v_mfma_i32_16x16x32_i8 v[220:223], a[102:103], v[154:155], v[220:223]// 00000000D4C4: D3D700DC 0F733566
	ds_read_b32 v70, v4 offset:19552                           // 00000000D4CC: D86C4C60 46000004
	ds_read_b32 v71, v4 offset:23904                           // 00000000D4D4: D86C5D60 47000004
	v_mfma_i32_16x16x32_i8 v[224:227], a[104:105], v[128:129], 0// 00000000D4DC: D3D700E0 0A030168
	buffer_load_dwordx4 a[8:11], v48, s[12:15], 0 offen        // 00000000D4E4: E05C1000 80830830
	v_mfma_i32_16x16x32_i8 v[224:227], a[106:107], v[130:131], v[224:227]// 00000000D4EC: D3D700E0 0F83056A
	ds_read_b32 v72, v4 offset:28160                           // 00000000D4F4: D86C6E00 48000004
	ds_read_b32 v73, v4 offset:32512                           // 00000000D4FC: D86C7F00 49000004
	v_mfma_i32_16x16x32_i8 v[228:231], a[104:105], v[152:153], 0// 00000000D504: D3D700E4 0A033168
	v_mfma_i32_16x16x32_i8 v[228:231], a[106:107], v[154:155], v[228:231]// 00000000D50C: D3D700E4 0F93356A
	ds_read_b32 v74, v4 offset:28192                           // 00000000D514: D86C6E20 4A000004
	ds_read_b32 v75, v4 offset:32544                           // 00000000D51C: D86C7F20 4B000004
	v_mfma_i32_16x16x32_i8 v[232:235], a[108:109], v[128:129], 0// 00000000D524: D3D700E8 0A03016C
	buffer_load_dwordx4 a[12:15], v49, s[12:15], 0 offen       // 00000000D52C: E05C1000 80830C31
	s_add_u32 s12, s78, s12                                    // 00000000D534: 800C0C4E
	s_addc_u32 s13, 0, s13                                     // 00000000D538: 820D0D80
	v_mfma_i32_16x16x32_i8 v[232:235], a[110:111], v[130:131], v[232:235]// 00000000D53C: D3D700E8 0FA3056E
	ds_read_b32 v76, v4 offset:28224                           // 00000000D544: D86C6E40 4C000004
	ds_read_b32 v77, v4 offset:32576                           // 00000000D54C: D86C7F40 4D000004
	v_mfma_i32_16x16x32_i8 v[236:239], a[108:109], v[152:153], 0// 00000000D554: D3D700EC 0A03316C
	v_mfma_i32_16x16x32_i8 v[236:239], a[110:111], v[154:155], v[236:239]// 00000000D55C: D3D700EC 0FB3356E
	ds_read_b32 v78, v4 offset:28256                           // 00000000D564: D86C6E60 4E000004
	ds_read_b32 v79, v4 offset:32608                           // 00000000D56C: D86C7F60 4F000004
	s_waitcnt vmcnt(21)                                        // 00000000D574: BF8C4F75
	v_mfma_i32_16x16x32_i8 v[208:211], a[112:113], v[132:133], v[208:211]// 00000000D578: D3D700D0 0F430970
	buffer_load_dwordx4 a[16:19], v46, s[12:15], 0 offen       // 00000000D580: E05C1000 8083102E
	v_mfma_i32_16x16x32_i8 v[208:211], a[114:115], v[134:135], v[208:211]// 00000000D588: D3D700D0 0F430D72
	v_mfma_i32_16x16x32_i8 v[212:215], a[112:113], v[156:157], v[212:215]// 00000000D590: D3D700D4 0F533970
	v_mfma_i32_16x16x32_i8 v[212:215], a[114:115], v[158:159], v[212:215]// 00000000D598: D3D700D4 0F533D72
	v_mfma_i32_16x16x32_i8 v[216:219], a[116:117], v[132:133], v[216:219]// 00000000D5A0: D3D700D8 0F630974
	buffer_load_dwordx4 a[20:23], v47, s[12:15], 0 offen       // 00000000D5A8: E05C1000 8083142F
	v_mfma_i32_16x16x32_i8 v[216:219], a[118:119], v[134:135], v[216:219]// 00000000D5B0: D3D700D8 0F630D76
	v_mfma_i32_16x16x32_i8 v[220:223], a[116:117], v[156:157], v[220:223]// 00000000D5B8: D3D700DC 0F733974
	v_mfma_i32_16x16x32_i8 v[220:223], a[118:119], v[158:159], v[220:223]// 00000000D5C0: D3D700DC 0F733D76
	v_mfma_i32_16x16x32_i8 v[224:227], a[120:121], v[132:133], v[224:227]// 00000000D5C8: D3D700E0 0F830978
	buffer_load_dwordx4 a[24:27], v48, s[12:15], 0 offen       // 00000000D5D0: E05C1000 80831830
	v_mfma_i32_16x16x32_i8 v[224:227], a[122:123], v[134:135], v[224:227]// 00000000D5D8: D3D700E0 0F830D7A
	v_mfma_i32_16x16x32_i8 v[228:231], a[120:121], v[156:157], v[228:231]// 00000000D5E0: D3D700E4 0F933978
	v_mfma_i32_16x16x32_i8 v[228:231], a[122:123], v[158:159], v[228:231]// 00000000D5E8: D3D700E4 0F933D7A
	v_mfma_i32_16x16x32_i8 v[232:235], a[124:125], v[132:133], v[232:235]// 00000000D5F0: D3D700E8 0FA3097C
	buffer_load_dwordx4 a[28:31], v49, s[12:15], 0 offen       // 00000000D5F8: E05C1000 80831C31
	s_add_u32 s12, s78, s12                                    // 00000000D600: 800C0C4E
	s_addc_u32 s13, 0, s13                                     // 00000000D604: 820D0D80
	v_mfma_i32_16x16x32_i8 v[232:235], a[126:127], v[134:135], v[232:235]// 00000000D608: D3D700E8 0FA30D7E
	v_mfma_i32_16x16x32_i8 v[236:239], a[124:125], v[156:157], v[236:239]// 00000000D610: D3D700EC 0FB3397C
	v_mfma_i32_16x16x32_i8 v[236:239], a[126:127], v[158:159], v[236:239]// 00000000D618: D3D700EC 0FB33D7E
	s_waitcnt vmcnt(21)                                        // 00000000D620: BF8C4F75
	v_mfma_i32_16x16x32_i8 v[208:211], a[128:129], v[136:137], v[208:211]// 00000000D624: D3D700D0 0F431180
	buffer_load_dwordx4 a[32:35], v46, s[12:15], 0 offen       // 00000000D62C: E05C1000 8083202E
	v_mfma_i32_16x16x32_i8 v[208:211], a[130:131], v[138:139], v[208:211]// 00000000D634: D3D700D0 0F431582
	ds_write_b64 v3, v[176:177] offset:2048                    // 00000000D63C: D89A0800 0000B003
	v_mfma_i32_16x16x32_i8 v[212:215], a[128:129], v[160:161], v[212:215]// 00000000D644: D3D700D4 0F534180
	v_mfma_i32_16x16x32_i8 v[212:215], a[130:131], v[162:163], v[212:215]// 00000000D64C: D3D700D4 0F534582
	ds_write_b64 v3, v[178:179] offset:10752                   // 00000000D654: D89A2A00 0000B203
	v_mfma_i32_16x16x32_i8 v[216:219], a[132:133], v[136:137], v[216:219]// 00000000D65C: D3D700D8 0F631184
	buffer_load_dwordx4 a[36:39], v47, s[12:15], 0 offen       // 00000000D664: E05C1000 8083242F
	v_mfma_i32_16x16x32_i8 v[216:219], a[134:135], v[138:139], v[216:219]// 00000000D66C: D3D700D8 0F631586
	ds_write_b64 v3, v[180:181] offset:4224                    // 00000000D674: D89A1080 0000B403
	v_mfma_i32_16x16x32_i8 v[220:223], a[132:133], v[160:161], v[220:223]// 00000000D67C: D3D700DC 0F734184
	v_mfma_i32_16x16x32_i8 v[220:223], a[134:135], v[162:163], v[220:223]// 00000000D684: D3D700DC 0F734586
	ds_write_b64 v3, v[182:183] offset:12928                   // 00000000D68C: D89A3280 0000B603
	v_mfma_i32_16x16x32_i8 v[224:227], a[136:137], v[136:137], v[224:227]// 00000000D694: D3D700E0 0F831188
	buffer_load_dwordx4 a[40:43], v48, s[12:15], 0 offen       // 00000000D69C: E05C1000 80832830
	v_mfma_i32_16x16x32_i8 v[224:227], a[138:139], v[138:139], v[224:227]// 00000000D6A4: D3D700E0 0F83158A
	ds_write_b64 v3, v[184:185] offset:6400                    // 00000000D6AC: D89A1900 0000B803
	v_mfma_i32_16x16x32_i8 v[228:231], a[136:137], v[160:161], v[228:231]// 00000000D6B4: D3D700E4 0F934188
	v_mfma_i32_16x16x32_i8 v[228:231], a[138:139], v[162:163], v[228:231]// 00000000D6BC: D3D700E4 0F93458A
	ds_write_b64 v3, v[186:187] offset:15104                   // 00000000D6C4: D89A3B00 0000BA03
	v_mfma_i32_16x16x32_i8 v[232:235], a[140:141], v[136:137], v[232:235]// 00000000D6CC: D3D700E8 0FA3118C
	buffer_load_dwordx4 a[44:47], v49, s[12:15], 0 offen       // 00000000D6D4: E05C1000 80832C31
	s_add_u32 s12, s78, s12                                    // 00000000D6DC: 800C0C4E
	s_addc_u32 s13, 0, s13                                     // 00000000D6E0: 820D0D80
	v_mfma_i32_16x16x32_i8 v[232:235], a[142:143], v[138:139], v[232:235]// 00000000D6E4: D3D700E8 0FA3158E
	ds_write_b64 v3, v[188:189] offset:8576                    // 00000000D6EC: D89A2180 0000BC03
	v_mfma_i32_16x16x32_i8 v[236:239], a[140:141], v[160:161], v[236:239]// 00000000D6F4: D3D700EC 0FB3418C
	v_mfma_i32_16x16x32_i8 v[236:239], a[142:143], v[162:163], v[236:239]// 00000000D6FC: D3D700EC 0FB3458E
	ds_write_b64 v3, v[190:191] offset:17280                   // 00000000D704: D89A4380 0000BE03
	s_waitcnt vmcnt(21)                                        // 00000000D70C: BF8C4F75
	v_mfma_i32_16x16x32_i8 v[208:211], a[144:145], v[140:141], v[208:211]// 00000000D710: D3D700D0 0F431990
	buffer_load_dwordx4 a[48:51], v46, s[12:15], 0 offen       // 00000000D718: E05C1000 8083302E
	v_mfma_i32_16x16x32_i8 v[208:211], a[146:147], v[142:143], v[208:211]// 00000000D720: D3D700D0 0F431D92
	v_mfma_i32_16x16x32_i8 v[212:215], a[144:145], v[164:165], v[212:215]// 00000000D728: D3D700D4 0F534990
	v_mfma_i32_16x16x32_i8 v[212:215], a[146:147], v[166:167], v[212:215]// 00000000D730: D3D700D4 0F534D92
	v_mfma_i32_16x16x32_i8 v[216:219], a[148:149], v[140:141], v[216:219]// 00000000D738: D3D700D8 0F631994
	buffer_load_dwordx4 a[52:55], v47, s[12:15], 0 offen       // 00000000D740: E05C1000 8083342F
	v_mfma_i32_16x16x32_i8 v[216:219], a[150:151], v[142:143], v[216:219]// 00000000D748: D3D700D8 0F631D96
	v_mfma_i32_16x16x32_i8 v[220:223], a[148:149], v[164:165], v[220:223]// 00000000D750: D3D700DC 0F734994
	v_mfma_i32_16x16x32_i8 v[220:223], a[150:151], v[166:167], v[220:223]// 00000000D758: D3D700DC 0F734D96
	v_mfma_i32_16x16x32_i8 v[224:227], a[152:153], v[140:141], v[224:227]// 00000000D760: D3D700E0 0F831998
	buffer_load_dwordx4 a[56:59], v48, s[12:15], 0 offen       // 00000000D768: E05C1000 80833830
	v_mfma_i32_16x16x32_i8 v[224:227], a[154:155], v[142:143], v[224:227]// 00000000D770: D3D700E0 0F831D9A
	v_mfma_i32_16x16x32_i8 v[228:231], a[152:153], v[164:165], v[228:231]// 00000000D778: D3D700E4 0F934998
	v_mfma_i32_16x16x32_i8 v[228:231], a[154:155], v[166:167], v[228:231]// 00000000D780: D3D700E4 0F934D9A
	v_mfma_i32_16x16x32_i8 v[232:235], a[156:157], v[140:141], v[232:235]// 00000000D788: D3D700E8 0FA3199C
	buffer_load_dwordx4 a[60:63], v49, s[12:15], 0 offen       // 00000000D790: E05C1000 80833C31
	s_add_u32 s12, s78, s12                                    // 00000000D798: 800C0C4E
	s_addc_u32 s13, 0, s13                                     // 00000000D79C: 820D0D80
	v_mfma_i32_16x16x32_i8 v[232:235], a[158:159], v[142:143], v[232:235]// 00000000D7A0: D3D700E8 0FA31D9E
	v_mfma_i32_16x16x32_i8 v[236:239], a[156:157], v[164:165], v[236:239]// 00000000D7A8: D3D700EC 0FB3499C
	v_mfma_i32_16x16x32_i8 v[236:239], a[158:159], v[166:167], v[236:239]// 00000000D7B0: D3D700EC 0FB34D9E
	s_waitcnt vmcnt(21)                                        // 00000000D7B8: BF8C4F75
	v_mfma_i32_16x16x32_i8 v[208:211], a[160:161], v[144:145], v[208:211]// 00000000D7BC: D3D700D0 0F4321A0
	buffer_load_dwordx4 a[64:67], v46, s[12:15], 0 offen       // 00000000D7C4: E05C1000 8083402E
	v_mfma_i32_16x16x32_i8 v[208:211], a[162:163], v[146:147], v[208:211]// 00000000D7CC: D3D700D0 0F4325A2
	v_mfma_i32_16x16x32_i8 v[212:215], a[160:161], v[168:169], v[212:215]// 00000000D7D4: D3D700D4 0F5351A0
	v_mfma_i32_16x16x32_i8 v[212:215], a[162:163], v[170:171], v[212:215]// 00000000D7DC: D3D700D4 0F5355A2
	v_mfma_i32_16x16x32_i8 v[216:219], a[164:165], v[144:145], v[216:219]// 00000000D7E4: D3D700D8 0F6321A4
	buffer_load_dwordx4 a[68:71], v47, s[12:15], 0 offen       // 00000000D7EC: E05C1000 8083442F
	v_mfma_i32_16x16x32_i8 v[216:219], a[166:167], v[146:147], v[216:219]// 00000000D7F4: D3D700D8 0F6325A6
	v_mfma_i32_16x16x32_i8 v[220:223], a[164:165], v[168:169], v[220:223]// 00000000D7FC: D3D700DC 0F7351A4
	v_mfma_i32_16x16x32_i8 v[220:223], a[166:167], v[170:171], v[220:223]// 00000000D804: D3D700DC 0F7355A6
	v_mfma_i32_16x16x32_i8 v[224:227], a[168:169], v[144:145], v[224:227]// 00000000D80C: D3D700E0 0F8321A8
	buffer_load_dwordx4 a[72:75], v48, s[12:15], 0 offen       // 00000000D814: E05C1000 80834830
	v_mfma_i32_16x16x32_i8 v[224:227], a[170:171], v[146:147], v[224:227]// 00000000D81C: D3D700E0 0F8325AA
	v_mfma_i32_16x16x32_i8 v[228:231], a[168:169], v[168:169], v[228:231]// 00000000D824: D3D700E4 0F9351A8
	v_mfma_i32_16x16x32_i8 v[228:231], a[170:171], v[170:171], v[228:231]// 00000000D82C: D3D700E4 0F9355AA
	v_mfma_i32_16x16x32_i8 v[232:235], a[172:173], v[144:145], v[232:235]// 00000000D834: D3D700E8 0FA321AC
	buffer_load_dwordx4 a[76:79], v49, s[12:15], 0 offen       // 00000000D83C: E05C1000 80834C31
	s_add_u32 s12, s78, s12                                    // 00000000D844: 800C0C4E
	s_addc_u32 s13, 0, s13                                     // 00000000D848: 820D0D80
	v_mfma_i32_16x16x32_i8 v[232:235], a[174:175], v[146:147], v[232:235]// 00000000D84C: D3D700E8 0FA325AE
	v_mfma_i32_16x16x32_i8 v[236:239], a[172:173], v[168:169], v[236:239]// 00000000D854: D3D700EC 0FB351AC
	v_mfma_i32_16x16x32_i8 v[236:239], a[174:175], v[170:171], v[236:239]// 00000000D85C: D3D700EC 0FB355AE
	s_waitcnt vmcnt(20)                                        // 00000000D864: BF8C4F74
	v_mfma_i32_16x16x32_i8 v[208:211], a[176:177], v[148:149], v[208:211]// 00000000D868: D3D700D0 0F4329B0
	buffer_load_dwordx4 a[80:83], v46, s[12:15], 0 offen       // 00000000D870: E05C1000 8083502E
	v_mfma_i32_16x16x32_i8 v[208:211], a[178:179], v[150:151], v[208:211]// 00000000D878: D3D700D0 0F432DB2
	v_mfma_i32_16x16x32_i8 v[212:215], a[176:177], v[172:173], v[212:215]// 00000000D880: D3D700D4 0F5359B0
	buffer_load_dword v12, v5, s[16:19], 0 offen               // 00000000D888: E0501000 80040C05
	v_mfma_i32_16x16x32_i8 v[212:215], a[178:179], v[174:175], v[212:215]// 00000000D890: D3D700D4 0F535DB2
	v_mfma_i32_16x16x32_i8 v[216:219], a[180:181], v[148:149], v[216:219]// 00000000D898: D3D700D8 0F6329B4
	buffer_load_dwordx4 a[84:87], v47, s[12:15], 0 offen       // 00000000D8A0: E05C1000 8083542F
	v_mfma_i32_16x16x32_i8 v[216:219], a[182:183], v[150:151], v[216:219]// 00000000D8A8: D3D700D8 0F632DB6
	v_mfma_i32_16x16x32_i8 v[220:223], a[180:181], v[172:173], v[220:223]// 00000000D8B0: D3D700DC 0F7359B4
	v_mfma_i32_16x16x32_i8 v[220:223], a[182:183], v[174:175], v[220:223]// 00000000D8B8: D3D700DC 0F735DB6
	v_mfma_i32_16x16x32_i8 v[224:227], a[184:185], v[148:149], v[224:227]// 00000000D8C0: D3D700E0 0F8329B8
	buffer_load_dwordx4 a[88:91], v48, s[12:15], 0 offen       // 00000000D8C8: E05C1000 80835830
	v_mfma_i32_16x16x32_i8 v[224:227], a[186:187], v[150:151], v[224:227]// 00000000D8D0: D3D700E0 0F832DBA
	v_mfma_i32_16x16x32_i8 v[228:231], a[184:185], v[172:173], v[228:231]// 00000000D8D8: D3D700E4 0F9359B8
	v_mfma_i32_16x16x32_i8 v[228:231], a[186:187], v[174:175], v[228:231]// 00000000D8E0: D3D700E4 0F935DBA
	v_mfma_i32_16x16x32_i8 v[232:235], a[188:189], v[148:149], v[232:235]// 00000000D8E8: D3D700E8 0FA329BC
	buffer_load_dwordx4 a[92:95], v49, s[12:15], 0 offen       // 00000000D8F0: E05C1000 80835C31
	v_mfma_i32_16x16x32_i8 v[232:235], a[190:191], v[150:151], v[232:235]// 00000000D8F8: D3D700E8 0FA32DBE
	v_mfma_i32_16x16x32_i8 v[236:239], a[188:189], v[172:173], v[236:239]// 00000000D900: D3D700EC 0FB359BC
	v_mfma_i32_16x16x32_i8 v[236:239], a[190:191], v[174:175], v[236:239]// 00000000D908: D3D700EC 0FB35DBE
	s_add_u32 s60, 0x200, s80                                  // 00000000D910: 803C50FF 00000200
	s_cmp_lt_u32 s60, s81                                      // 00000000D918: BF0A513C
	s_cselect_b32 s56, s56, 0                                  // 00000000D91C: 85388038
	s_cselect_b32 s78, s78, 0                                  // 00000000D920: 854E804E
	s_cselect_b32 s79, s79, 0                                  // 00000000D924: 854F804F
	s_add_u32 s12, s56, s12                                    // 00000000D928: 800C0C38
	s_addc_u32 s13, 0, s13                                     // 00000000D92C: 820D0D80
	s_add_u32 s16, s79, s16                                    // 00000000D930: 8010104F
	s_addc_u32 s17, 0, s17                                     // 00000000D934: 82111180
	v_mov_b32_e32 v42, v24                                     // 00000000D938: 7E540318
	v_mov_b32_e32 v44, v20                                     // 00000000D93C: 7E580314
	v_mov_b32_e32 v43, v42                                     // 00000000D940: 7E56032A
	v_mov_b32_e32 v45, v44                                     // 00000000D944: 7E5A032C
	v_cvt_f32_i32_e32 v208, v208                               // 00000000D948: 7FA00BD0
	v_cvt_f32_i32_e32 v209, v209                               // 00000000D94C: 7FA20BD1
	v_cvt_f32_i32_e32 v210, v210                               // 00000000D950: 7FA40BD2
	v_cvt_f32_i32_e32 v211, v211                               // 00000000D954: 7FA60BD3
	v_pk_mul_f32 v[208:209], v[42:43], v[208:209]              // 00000000D958: D3B140D0 1803A12A
	v_pk_mul_f32 v[210:211], v[42:43], v[210:211]              // 00000000D960: D3B140D2 1803A52A
	v_mul_f32_dpp v208, v13, v208 row_newbcast:0 row_mask:0xf bank_mask:0xf// 00000000D968: 0BA1A0FA FF01500D
	v_mul_f32_dpp v209, v13, v209 row_newbcast:1 row_mask:0xf bank_mask:0xf// 00000000D970: 0BA3A2FA FF01510D
	v_mul_f32_dpp v210, v13, v210 row_newbcast:2 row_mask:0xf bank_mask:0xf// 00000000D978: 0BA5A4FA FF01520D
	v_mul_f32_dpp v211, v13, v211 row_newbcast:3 row_mask:0xf bank_mask:0xf// 00000000D980: 0BA7A6FA FF01530D
	v_pk_mul_f32 v[208:209], v[44:45], v[208:209]              // 00000000D988: D3B140D0 1803A12C
	v_pk_mul_f32 v[210:211], v[44:45], v[210:211]              // 00000000D990: D3B140D2 1803A52C
	v_cvt_f32_i32_e32 v216, v216                               // 00000000D998: 7FB00BD8
	v_cvt_f32_i32_e32 v217, v217                               // 00000000D99C: 7FB20BD9
	v_cvt_f32_i32_e32 v218, v218                               // 00000000D9A0: 7FB40BDA
	v_cvt_f32_i32_e32 v219, v219                               // 00000000D9A4: 7FB60BDB
	v_pk_mul_f32 v[216:217], v[42:43], v[216:217]              // 00000000D9A8: D3B140D8 1803B12A
	v_pk_mul_f32 v[218:219], v[42:43], v[218:219]              // 00000000D9B0: D3B140DA 1803B52A
	v_mul_f32_dpp v216, v13, v216 row_newbcast:4 row_mask:0xf bank_mask:0xf// 00000000D9B8: 0BB1B0FA FF01540D
	v_mul_f32_dpp v217, v13, v217 row_newbcast:5 row_mask:0xf bank_mask:0xf// 00000000D9C0: 0BB3B2FA FF01550D
	v_mul_f32_dpp v218, v13, v218 row_newbcast:6 row_mask:0xf bank_mask:0xf// 00000000D9C8: 0BB5B4FA FF01560D
	v_mul_f32_dpp v219, v13, v219 row_newbcast:7 row_mask:0xf bank_mask:0xf// 00000000D9D0: 0BB7B6FA FF01570D
	v_pk_mul_f32 v[216:217], v[44:45], v[216:217]              // 00000000D9D8: D3B140D8 1803B12C
	v_pk_mul_f32 v[218:219], v[44:45], v[218:219]              // 00000000D9E0: D3B140DA 1803B52C
	v_cvt_f32_i32_e32 v224, v224                               // 00000000D9E8: 7FC00BE0
	v_cvt_f32_i32_e32 v225, v225                               // 00000000D9EC: 7FC20BE1
	v_cvt_f32_i32_e32 v226, v226                               // 00000000D9F0: 7FC40BE2
	v_cvt_f32_i32_e32 v227, v227                               // 00000000D9F4: 7FC60BE3
	v_pk_mul_f32 v[224:225], v[42:43], v[224:225]              // 00000000D9F8: D3B140E0 1803C12A
	v_pk_mul_f32 v[226:227], v[42:43], v[226:227]              // 00000000DA00: D3B140E2 1803C52A
	v_mul_f32_dpp v224, v13, v224 row_newbcast:8 row_mask:0xf bank_mask:0xf// 00000000DA08: 0BC1C0FA FF01580D
	v_mul_f32_dpp v225, v13, v225 row_newbcast:9 row_mask:0xf bank_mask:0xf// 00000000DA10: 0BC3C2FA FF01590D
	v_mul_f32_dpp v226, v13, v226 row_newbcast:10 row_mask:0xf bank_mask:0xf// 00000000DA18: 0BC5C4FA FF015A0D
	v_mul_f32_dpp v227, v13, v227 row_newbcast:11 row_mask:0xf bank_mask:0xf// 00000000DA20: 0BC7C6FA FF015B0D
	v_pk_mul_f32 v[224:225], v[44:45], v[224:225]              // 00000000DA28: D3B140E0 1803C12C
	v_pk_mul_f32 v[226:227], v[44:45], v[226:227]              // 00000000DA30: D3B140E2 1803C52C
	v_cvt_f32_i32_e32 v232, v232                               // 00000000DA38: 7FD00BE8
	v_cvt_f32_i32_e32 v233, v233                               // 00000000DA3C: 7FD20BE9
	v_cvt_f32_i32_e32 v234, v234                               // 00000000DA40: 7FD40BEA
	v_cvt_f32_i32_e32 v235, v235                               // 00000000DA44: 7FD60BEB
	v_pk_mul_f32 v[232:233], v[42:43], v[232:233]              // 00000000DA48: D3B140E8 1803D12A
	v_pk_mul_f32 v[234:235], v[42:43], v[234:235]              // 00000000DA50: D3B140EA 1803D52A
	v_mul_f32_dpp v232, v13, v232 row_newbcast:12 row_mask:0xf bank_mask:0xf// 00000000DA58: 0BD1D0FA FF015C0D
	v_mul_f32_dpp v233, v13, v233 row_newbcast:13 row_mask:0xf bank_mask:0xf// 00000000DA60: 0BD3D2FA FF015D0D
	v_mul_f32_dpp v234, v13, v234 row_newbcast:14 row_mask:0xf bank_mask:0xf// 00000000DA68: 0BD5D4FA FF015E0D
	v_mul_f32_dpp v235, v13, v235 row_newbcast:15 row_mask:0xf bank_mask:0xf// 00000000DA70: 0BD7D6FA FF015F0D
	v_pk_mul_f32 v[232:233], v[44:45], v[232:233]              // 00000000DA78: D3B140E8 1803D12C
	v_pk_mul_f32 v[234:235], v[44:45], v[234:235]              // 00000000DA80: D3B140EA 1803D52C
	v_mov_b32_e32 v42, v25                                     // 00000000DA88: 7E540319
	v_mov_b32_e32 v44, v21                                     // 00000000DA8C: 7E580315
	v_mov_b32_e32 v43, v42                                     // 00000000DA90: 7E56032A
	v_mov_b32_e32 v45, v44                                     // 00000000DA94: 7E5A032C
	v_cvt_f32_i32_e32 v212, v212                               // 00000000DA98: 7FA80BD4
	v_cvt_f32_i32_e32 v213, v213                               // 00000000DA9C: 7FAA0BD5
	v_cvt_f32_i32_e32 v214, v214                               // 00000000DAA0: 7FAC0BD6
	v_cvt_f32_i32_e32 v215, v215                               // 00000000DAA4: 7FAE0BD7
	v_pk_mul_f32 v[212:213], v[42:43], v[212:213]              // 00000000DAA8: D3B140D4 1803A92A
	v_pk_mul_f32 v[214:215], v[42:43], v[214:215]              // 00000000DAB0: D3B140D6 1803AD2A
	v_mul_f32_dpp v212, v13, v212 row_newbcast:0 row_mask:0xf bank_mask:0xf// 00000000DAB8: 0BA9A8FA FF01500D
	v_mul_f32_dpp v213, v13, v213 row_newbcast:1 row_mask:0xf bank_mask:0xf// 00000000DAC0: 0BABAAFA FF01510D
	v_mul_f32_dpp v214, v13, v214 row_newbcast:2 row_mask:0xf bank_mask:0xf// 00000000DAC8: 0BADACFA FF01520D
	v_mul_f32_dpp v215, v13, v215 row_newbcast:3 row_mask:0xf bank_mask:0xf// 00000000DAD0: 0BAFAEFA FF01530D
	v_pk_mul_f32 v[212:213], v[44:45], v[212:213]              // 00000000DAD8: D3B140D4 1803A92C
	v_pk_mul_f32 v[214:215], v[44:45], v[214:215]              // 00000000DAE0: D3B140D6 1803AD2C
	v_cvt_f32_i32_e32 v220, v220                               // 00000000DAE8: 7FB80BDC
	v_cvt_f32_i32_e32 v221, v221                               // 00000000DAEC: 7FBA0BDD
	v_cvt_f32_i32_e32 v222, v222                               // 00000000DAF0: 7FBC0BDE
	v_cvt_f32_i32_e32 v223, v223                               // 00000000DAF4: 7FBE0BDF
	v_pk_mul_f32 v[220:221], v[42:43], v[220:221]              // 00000000DAF8: D3B140DC 1803B92A
	v_pk_mul_f32 v[222:223], v[42:43], v[222:223]              // 00000000DB00: D3B140DE 1803BD2A
	v_mul_f32_dpp v220, v13, v220 row_newbcast:4 row_mask:0xf bank_mask:0xf// 00000000DB08: 0BB9B8FA FF01540D
	v_mul_f32_dpp v221, v13, v221 row_newbcast:5 row_mask:0xf bank_mask:0xf// 00000000DB10: 0BBBBAFA FF01550D
	v_mul_f32_dpp v222, v13, v222 row_newbcast:6 row_mask:0xf bank_mask:0xf// 00000000DB18: 0BBDBCFA FF01560D
	v_mul_f32_dpp v223, v13, v223 row_newbcast:7 row_mask:0xf bank_mask:0xf// 00000000DB20: 0BBFBEFA FF01570D
	v_pk_mul_f32 v[220:221], v[44:45], v[220:221]              // 00000000DB28: D3B140DC 1803B92C
	v_pk_mul_f32 v[222:223], v[44:45], v[222:223]              // 00000000DB30: D3B140DE 1803BD2C
	v_cvt_f32_i32_e32 v228, v228                               // 00000000DB38: 7FC80BE4
	v_cvt_f32_i32_e32 v229, v229                               // 00000000DB3C: 7FCA0BE5
	v_cvt_f32_i32_e32 v230, v230                               // 00000000DB40: 7FCC0BE6
	v_cvt_f32_i32_e32 v231, v231                               // 00000000DB44: 7FCE0BE7
	v_pk_mul_f32 v[228:229], v[42:43], v[228:229]              // 00000000DB48: D3B140E4 1803C92A
	v_pk_mul_f32 v[230:231], v[42:43], v[230:231]              // 00000000DB50: D3B140E6 1803CD2A
	v_mul_f32_dpp v228, v13, v228 row_newbcast:8 row_mask:0xf bank_mask:0xf// 00000000DB58: 0BC9C8FA FF01580D
	v_mul_f32_dpp v229, v13, v229 row_newbcast:9 row_mask:0xf bank_mask:0xf// 00000000DB60: 0BCBCAFA FF01590D
	v_mul_f32_dpp v230, v13, v230 row_newbcast:10 row_mask:0xf bank_mask:0xf// 00000000DB68: 0BCDCCFA FF015A0D
	v_mul_f32_dpp v231, v13, v231 row_newbcast:11 row_mask:0xf bank_mask:0xf// 00000000DB70: 0BCFCEFA FF015B0D
	v_pk_mul_f32 v[228:229], v[44:45], v[228:229]              // 00000000DB78: D3B140E4 1803C92C
	v_pk_mul_f32 v[230:231], v[44:45], v[230:231]              // 00000000DB80: D3B140E6 1803CD2C
	v_cvt_f32_i32_e32 v236, v236                               // 00000000DB88: 7FD80BEC
	v_cvt_f32_i32_e32 v237, v237                               // 00000000DB8C: 7FDA0BED
	v_cvt_f32_i32_e32 v238, v238                               // 00000000DB90: 7FDC0BEE
	v_cvt_f32_i32_e32 v239, v239                               // 00000000DB94: 7FDE0BEF
	v_pk_mul_f32 v[236:237], v[42:43], v[236:237]              // 00000000DB98: D3B140EC 1803D92A
	v_pk_mul_f32 v[238:239], v[42:43], v[238:239]              // 00000000DBA0: D3B140EE 1803DD2A
	v_mul_f32_dpp v236, v13, v236 row_newbcast:12 row_mask:0xf bank_mask:0xf// 00000000DBA8: 0BD9D8FA FF015C0D
	v_mul_f32_dpp v237, v13, v237 row_newbcast:13 row_mask:0xf bank_mask:0xf// 00000000DBB0: 0BDBDAFA FF015D0D
	v_mul_f32_dpp v238, v13, v238 row_newbcast:14 row_mask:0xf bank_mask:0xf// 00000000DBB8: 0BDDDCFA FF015E0D
	v_mul_f32_dpp v239, v13, v239 row_newbcast:15 row_mask:0xf bank_mask:0xf// 00000000DBC0: 0BDFDEFA FF015F0D
	v_pk_mul_f32 v[236:237], v[44:45], v[236:237]              // 00000000DBC8: D3B140EC 1803D92C
	v_pk_mul_f32 v[238:239], v[44:45], v[238:239]              // 00000000DBD0: D3B140EE 1803DD2C
	v_cmp_u_f32_e64 s[48:49], v208, v208                       // 00000000DBD8: D0480030 0003A1D0
	v_add3_u32 v50, v208, v53, 1                               // 00000000DBE0: D1FF0032 02066BD0
	v_cndmask_b32_e64 v42, v50, v52, s[48:49]                  // 00000000DBE8: D100002A 00C26932
	v_cmp_u_f32_e64 s[48:49], v209, v209                       // 00000000DBF0: D0480030 0003A3D1
	v_add3_u32 v50, v209, v53, 1                               // 00000000DBF8: D1FF0032 02066BD1
	v_cndmask_b32_e64 v43, v50, v52, s[48:49]                  // 00000000DC00: D100002B 00C26932
	v_perm_b32 v208, v43, v42, s52                             // 00000000DC08: D1ED00D0 00D2552B
	v_cmp_u_f32_e64 s[48:49], v210, v210                       // 00000000DC10: D0480030 0003A5D2
	v_add3_u32 v50, v210, v53, 1                               // 00000000DC18: D1FF0032 02066BD2
	v_cndmask_b32_e64 v42, v50, v52, s[48:49]                  // 00000000DC20: D100002A 00C26932
	v_cmp_u_f32_e64 s[48:49], v211, v211                       // 00000000DC28: D0480030 0003A7D3
	v_add3_u32 v50, v211, v53, 1                               // 00000000DC30: D1FF0032 02066BD3
	v_cndmask_b32_e64 v43, v50, v52, s[48:49]                  // 00000000DC38: D100002B 00C26932
	v_perm_b32 v209, v43, v42, s52                             // 00000000DC40: D1ED00D1 00D2552B
	v_cmp_u_f32_e64 s[48:49], v212, v212                       // 00000000DC48: D0480030 0003A9D4
	v_add3_u32 v50, v212, v53, 1                               // 00000000DC50: D1FF0032 02066BD4
	v_cndmask_b32_e64 v42, v50, v52, s[48:49]                  // 00000000DC58: D100002A 00C26932
	v_cmp_u_f32_e64 s[48:49], v213, v213                       // 00000000DC60: D0480030 0003ABD5
	v_add3_u32 v50, v213, v53, 1                               // 00000000DC68: D1FF0032 02066BD5
	v_cndmask_b32_e64 v43, v50, v52, s[48:49]                  // 00000000DC70: D100002B 00C26932
	v_perm_b32 v210, v43, v42, s52                             // 00000000DC78: D1ED00D2 00D2552B
	v_cmp_u_f32_e64 s[48:49], v214, v214                       // 00000000DC80: D0480030 0003ADD6
	v_add3_u32 v50, v214, v53, 1                               // 00000000DC88: D1FF0032 02066BD6
	v_cndmask_b32_e64 v42, v50, v52, s[48:49]                  // 00000000DC90: D100002A 00C26932
	v_cmp_u_f32_e64 s[48:49], v215, v215                       // 00000000DC98: D0480030 0003AFD7
	v_add3_u32 v50, v215, v53, 1                               // 00000000DCA0: D1FF0032 02066BD7
	v_cndmask_b32_e64 v43, v50, v52, s[48:49]                  // 00000000DCA8: D100002B 00C26932
	v_perm_b32 v211, v43, v42, s52                             // 00000000DCB0: D1ED00D3 00D2552B
	v_cmp_u_f32_e64 s[48:49], v216, v216                       // 00000000DCB8: D0480030 0003B1D8
	v_add3_u32 v50, v216, v53, 1                               // 00000000DCC0: D1FF0032 02066BD8
	v_cndmask_b32_e64 v42, v50, v52, s[48:49]                  // 00000000DCC8: D100002A 00C26932
	v_cmp_u_f32_e64 s[48:49], v217, v217                       // 00000000DCD0: D0480030 0003B3D9
	v_add3_u32 v50, v217, v53, 1                               // 00000000DCD8: D1FF0032 02066BD9
	v_cndmask_b32_e64 v43, v50, v52, s[48:49]                  // 00000000DCE0: D100002B 00C26932
	v_perm_b32 v212, v43, v42, s52                             // 00000000DCE8: D1ED00D4 00D2552B
	v_cmp_u_f32_e64 s[48:49], v218, v218                       // 00000000DCF0: D0480030 0003B5DA
	v_add3_u32 v50, v218, v53, 1                               // 00000000DCF8: D1FF0032 02066BDA
	v_cndmask_b32_e64 v42, v50, v52, s[48:49]                  // 00000000DD00: D100002A 00C26932
	v_cmp_u_f32_e64 s[48:49], v219, v219                       // 00000000DD08: D0480030 0003B7DB
	v_add3_u32 v50, v219, v53, 1                               // 00000000DD10: D1FF0032 02066BDB
	v_cndmask_b32_e64 v43, v50, v52, s[48:49]                  // 00000000DD18: D100002B 00C26932
	v_perm_b32 v213, v43, v42, s52                             // 00000000DD20: D1ED00D5 00D2552B
	v_cmp_u_f32_e64 s[48:49], v220, v220                       // 00000000DD28: D0480030 0003B9DC
	v_add3_u32 v50, v220, v53, 1                               // 00000000DD30: D1FF0032 02066BDC
	v_cndmask_b32_e64 v42, v50, v52, s[48:49]                  // 00000000DD38: D100002A 00C26932
	v_cmp_u_f32_e64 s[48:49], v221, v221                       // 00000000DD40: D0480030 0003BBDD
	v_add3_u32 v50, v221, v53, 1                               // 00000000DD48: D1FF0032 02066BDD
	v_cndmask_b32_e64 v43, v50, v52, s[48:49]                  // 00000000DD50: D100002B 00C26932
	v_perm_b32 v214, v43, v42, s52                             // 00000000DD58: D1ED00D6 00D2552B
	v_cmp_u_f32_e64 s[48:49], v222, v222                       // 00000000DD60: D0480030 0003BDDE
	v_add3_u32 v50, v222, v53, 1                               // 00000000DD68: D1FF0032 02066BDE
	v_cndmask_b32_e64 v42, v50, v52, s[48:49]                  // 00000000DD70: D100002A 00C26932
	v_cmp_u_f32_e64 s[48:49], v223, v223                       // 00000000DD78: D0480030 0003BFDF
	v_add3_u32 v50, v223, v53, 1                               // 00000000DD80: D1FF0032 02066BDF
	v_cndmask_b32_e64 v43, v50, v52, s[48:49]                  // 00000000DD88: D100002B 00C26932
	v_perm_b32 v215, v43, v42, s52                             // 00000000DD90: D1ED00D7 00D2552B
	v_cmp_u_f32_e64 s[48:49], v224, v224                       // 00000000DD98: D0480030 0003C1E0
	v_add3_u32 v50, v224, v53, 1                               // 00000000DDA0: D1FF0032 02066BE0
	v_cndmask_b32_e64 v42, v50, v52, s[48:49]                  // 00000000DDA8: D100002A 00C26932
	v_cmp_u_f32_e64 s[48:49], v225, v225                       // 00000000DDB0: D0480030 0003C3E1
	v_add3_u32 v50, v225, v53, 1                               // 00000000DDB8: D1FF0032 02066BE1
	v_cndmask_b32_e64 v43, v50, v52, s[48:49]                  // 00000000DDC0: D100002B 00C26932
	v_perm_b32 v216, v43, v42, s52                             // 00000000DDC8: D1ED00D8 00D2552B
	v_cmp_u_f32_e64 s[48:49], v226, v226                       // 00000000DDD0: D0480030 0003C5E2
	v_add3_u32 v50, v226, v53, 1                               // 00000000DDD8: D1FF0032 02066BE2
	v_cndmask_b32_e64 v42, v50, v52, s[48:49]                  // 00000000DDE0: D100002A 00C26932
	v_cmp_u_f32_e64 s[48:49], v227, v227                       // 00000000DDE8: D0480030 0003C7E3
	v_add3_u32 v50, v227, v53, 1                               // 00000000DDF0: D1FF0032 02066BE3
	v_cndmask_b32_e64 v43, v50, v52, s[48:49]                  // 00000000DDF8: D100002B 00C26932
	v_perm_b32 v217, v43, v42, s52                             // 00000000DE00: D1ED00D9 00D2552B
	v_cmp_u_f32_e64 s[48:49], v228, v228                       // 00000000DE08: D0480030 0003C9E4
	v_add3_u32 v50, v228, v53, 1                               // 00000000DE10: D1FF0032 02066BE4
	v_cndmask_b32_e64 v42, v50, v52, s[48:49]                  // 00000000DE18: D100002A 00C26932
	v_cmp_u_f32_e64 s[48:49], v229, v229                       // 00000000DE20: D0480030 0003CBE5
	v_add3_u32 v50, v229, v53, 1                               // 00000000DE28: D1FF0032 02066BE5
	v_cndmask_b32_e64 v43, v50, v52, s[48:49]                  // 00000000DE30: D100002B 00C26932
	v_perm_b32 v218, v43, v42, s52                             // 00000000DE38: D1ED00DA 00D2552B
	v_cmp_u_f32_e64 s[48:49], v230, v230                       // 00000000DE40: D0480030 0003CDE6
	v_add3_u32 v50, v230, v53, 1                               // 00000000DE48: D1FF0032 02066BE6
	v_cndmask_b32_e64 v42, v50, v52, s[48:49]                  // 00000000DE50: D100002A 00C26932
	v_cmp_u_f32_e64 s[48:49], v231, v231                       // 00000000DE58: D0480030 0003CFE7
	v_add3_u32 v50, v231, v53, 1                               // 00000000DE60: D1FF0032 02066BE7
	v_cndmask_b32_e64 v43, v50, v52, s[48:49]                  // 00000000DE68: D100002B 00C26932
	v_perm_b32 v219, v43, v42, s52                             // 00000000DE70: D1ED00DB 00D2552B
	v_cmp_u_f32_e64 s[48:49], v232, v232                       // 00000000DE78: D0480030 0003D1E8
	v_add3_u32 v50, v232, v53, 1                               // 00000000DE80: D1FF0032 02066BE8
	v_cndmask_b32_e64 v42, v50, v52, s[48:49]                  // 00000000DE88: D100002A 00C26932
	v_cmp_u_f32_e64 s[48:49], v233, v233                       // 00000000DE90: D0480030 0003D3E9
	v_add3_u32 v50, v233, v53, 1                               // 00000000DE98: D1FF0032 02066BE9
	v_cndmask_b32_e64 v43, v50, v52, s[48:49]                  // 00000000DEA0: D100002B 00C26932
	v_perm_b32 v220, v43, v42, s52                             // 00000000DEA8: D1ED00DC 00D2552B
	v_cmp_u_f32_e64 s[48:49], v234, v234                       // 00000000DEB0: D0480030 0003D5EA
	v_add3_u32 v50, v234, v53, 1                               // 00000000DEB8: D1FF0032 02066BEA
	v_cndmask_b32_e64 v42, v50, v52, s[48:49]                  // 00000000DEC0: D100002A 00C26932
	v_cmp_u_f32_e64 s[48:49], v235, v235                       // 00000000DEC8: D0480030 0003D7EB
	v_add3_u32 v50, v235, v53, 1                               // 00000000DED0: D1FF0032 02066BEB
	v_cndmask_b32_e64 v43, v50, v52, s[48:49]                  // 00000000DED8: D100002B 00C26932
	v_perm_b32 v221, v43, v42, s52                             // 00000000DEE0: D1ED00DD 00D2552B
	v_cmp_u_f32_e64 s[48:49], v236, v236                       // 00000000DEE8: D0480030 0003D9EC
	v_add3_u32 v50, v236, v53, 1                               // 00000000DEF0: D1FF0032 02066BEC
	v_cndmask_b32_e64 v42, v50, v52, s[48:49]                  // 00000000DEF8: D100002A 00C26932
	v_cmp_u_f32_e64 s[48:49], v237, v237                       // 00000000DF00: D0480030 0003DBED
	v_add3_u32 v50, v237, v53, 1                               // 00000000DF08: D1FF0032 02066BED
	v_cndmask_b32_e64 v43, v50, v52, s[48:49]                  // 00000000DF10: D100002B 00C26932
	v_perm_b32 v222, v43, v42, s52                             // 00000000DF18: D1ED00DE 00D2552B
	v_cmp_u_f32_e64 s[48:49], v238, v238                       // 00000000DF20: D0480030 0003DDEE
	v_add3_u32 v50, v238, v53, 1                               // 00000000DF28: D1FF0032 02066BEE
	v_cndmask_b32_e64 v42, v50, v52, s[48:49]                  // 00000000DF30: D100002A 00C26932
	v_cmp_u_f32_e64 s[48:49], v239, v239                       // 00000000DF38: D0480030 0003DFEF
	v_add3_u32 v50, v239, v53, 1                               // 00000000DF40: D1FF0032 02066BEF
	v_cndmask_b32_e64 v43, v50, v52, s[48:49]                  // 00000000DF48: D100002B 00C26932
	v_perm_b32 v223, v43, v42, s52                             // 00000000DF50: D1ED00DF 00D2552B
	s_cmp_ge_u32 s80, 0x200                                    // 00000000DF58: BF09FF50 00000200
	s_cselect_b32 s59, 0x200, s59                              // 00000000DF60: 853B3BFF 00000200
	s_setvskip s20, 0                                          // 00000000DF68: BF108014
	global_atomic_pk_add_bf16 v80, v64, s[8:9]                 // 00000000DF6C: DD488000 00084050
	s_setvskip 0, 0                                            // 00000000DF74: BF108080
	s_setvskip s20, 0                                          // 00000000DF78: BF108014
	global_atomic_pk_add_bf16 v80, v65, s[8:9] offset:256      // 00000000DF7C: DD488100 00084150
	s_setvskip 0, 0                                            // 00000000DF84: BF108080
	s_setvskip s20, 1                                          // 00000000DF88: BF108114
	global_atomic_pk_add_bf16 v82, v66, s[8:9]                 // 00000000DF8C: DD488000 00084252
	s_setvskip 0, 0                                            // 00000000DF94: BF108080
	s_setvskip s20, 1                                          // 00000000DF98: BF108114
	global_atomic_pk_add_bf16 v82, v67, s[8:9] offset:256      // 00000000DF9C: DD488100 00084352
	s_setvskip 0, 0                                            // 00000000DFA4: BF108080
	s_setvskip s20, 2                                          // 00000000DFA8: BF108214
	global_atomic_pk_add_bf16 v84, v68, s[8:9]                 // 00000000DFAC: DD488000 00084454
	s_setvskip 0, 0                                            // 00000000DFB4: BF108080
	s_setvskip s20, 2                                          // 00000000DFB8: BF108214
	global_atomic_pk_add_bf16 v84, v69, s[8:9] offset:256      // 00000000DFBC: DD488100 00084554
	s_setvskip 0, 0                                            // 00000000DFC4: BF108080
	s_setvskip s20, 3                                          // 00000000DFC8: BF108314
	global_atomic_pk_add_bf16 v86, v70, s[8:9]                 // 00000000DFCC: DD488000 00084656
	s_setvskip 0, 0                                            // 00000000DFD4: BF108080
	s_setvskip s20, 3                                          // 00000000DFD8: BF108314
	global_atomic_pk_add_bf16 v86, v71, s[8:9] offset:256      // 00000000DFDC: DD488100 00084756
	s_setvskip 0, 0                                            // 00000000DFE4: BF108080
	s_setvskip s20, 4                                          // 00000000DFE8: BF108414
	global_atomic_pk_add_bf16 v88, v72, s[8:9]                 // 00000000DFEC: DD488000 00084858
	s_setvskip 0, 0                                            // 00000000DFF4: BF108080
	s_setvskip s20, 4                                          // 00000000DFF8: BF108414
	global_atomic_pk_add_bf16 v88, v73, s[8:9] offset:256      // 00000000DFFC: DD488100 00084958
	s_setvskip 0, 0                                            // 00000000E004: BF108080
	s_setvskip s20, 5                                          // 00000000E008: BF108514
	global_atomic_pk_add_bf16 v90, v74, s[8:9]                 // 00000000E00C: DD488000 00084A5A
	s_setvskip 0, 0                                            // 00000000E014: BF108080
	s_setvskip s20, 5                                          // 00000000E018: BF108514
	global_atomic_pk_add_bf16 v90, v75, s[8:9] offset:256      // 00000000E01C: DD488100 00084B5A
	s_setvskip 0, 0                                            // 00000000E024: BF108080
	s_setvskip s20, 6                                          // 00000000E028: BF108614
	global_atomic_pk_add_bf16 v92, v76, s[8:9]                 // 00000000E02C: DD488000 00084C5C
	s_setvskip 0, 0                                            // 00000000E034: BF108080
	s_setvskip s20, 6                                          // 00000000E038: BF108614
	global_atomic_pk_add_bf16 v92, v77, s[8:9] offset:256      // 00000000E03C: DD488100 00084D5C
	s_setvskip 0, 0                                            // 00000000E044: BF108080
	s_setvskip s20, 7                                          // 00000000E048: BF108714
	global_atomic_pk_add_bf16 v94, v78, s[8:9]                 // 00000000E04C: DD488000 00084E5E
	s_setvskip 0, 0                                            // 00000000E054: BF108080
	s_setvskip s20, 7                                          // 00000000E058: BF108714
	global_atomic_pk_add_bf16 v94, v79, s[8:9] offset:256      // 00000000E05C: DD488100 00084F5E
	s_setvskip 0, 0                                            // 00000000E064: BF108080
	s_add_u32 s8, s59, s8                                      // 00000000E068: 8008083B
	s_addc_u32 s9, 0, s9                                       // 00000000E06C: 82090980
	s_addk_i32 s80, 0x100                                      // 00000000E070: B7500100
	s_cmp_lt_i32 s80, s81                                      // 00000000E074: BF045150
	s_cbranch_scc0 label_1855                                  // 00000000E078: BF84EBB6
	s_branch label_2683                                        // 00000000E07C: BF82F9E3

000000000000e080 <label_2CA0>:
	s_cmp_ge_u32 s59, 0                                        // 00000000E080: BF09803B
	s_cselect_b32 s59, 0x200, s59                              // 00000000E084: 853B3BFF 00000200
	s_waitcnt lgkmcnt(0)                                       // 00000000E08C: BF8CC07F
	s_barrier                                                  // 00000000E090: BF8A0000
	s_cmp_eq_u32 s64, 0x100                                    // 00000000E094: BF06FF40 00000100
	s_cbranch_scc0 label_2D1C                                  // 00000000E09C: BF840074
	ds_write_b64 v3, v[176:177] offset:2048                    // 00000000E0A0: D89A0800 0000B003
	ds_write_b64 v3, v[178:179] offset:10752                   // 00000000E0A8: D89A2A00 0000B203
	ds_write_b64 v3, v[180:181] offset:4224                    // 00000000E0B0: D89A1080 0000B403
	ds_write_b64 v3, v[182:183] offset:12928                   // 00000000E0B8: D89A3280 0000B603
	ds_write_b64 v3, v[184:185] offset:6400                    // 00000000E0C0: D89A1900 0000B803
	ds_write_b64 v3, v[186:187] offset:15104                   // 00000000E0C8: D89A3B00 0000BA03
	ds_write_b64 v3, v[188:189] offset:8576                    // 00000000E0D0: D89A2180 0000BC03
	ds_write_b64 v3, v[190:191] offset:17280                   // 00000000E0D8: D89A4380 0000BE03
	s_waitcnt lgkmcnt(0)                                       // 00000000E0E0: BF8CC07F
	s_barrier                                                  // 00000000E0E4: BF8A0000
	ds_read_b32 v64, v4 offset:2048                            // 00000000E0E8: D86C0800 40000004
	ds_read_b32 v65, v4 offset:6400                            // 00000000E0F0: D86C1900 41000004
	ds_read_b32 v66, v4 offset:2080                            // 00000000E0F8: D86C0820 42000004
	ds_read_b32 v67, v4 offset:6432                            // 00000000E100: D86C1920 43000004
	ds_read_b32 v68, v4 offset:2112                            // 00000000E108: D86C0840 44000004
	ds_read_b32 v69, v4 offset:6464                            // 00000000E110: D86C1940 45000004
	ds_read_b32 v70, v4 offset:2144                            // 00000000E118: D86C0860 46000004
	ds_read_b32 v71, v4 offset:6496                            // 00000000E120: D86C1960 47000004
	ds_read_b32 v72, v4 offset:10752                           // 00000000E128: D86C2A00 48000004
	ds_read_b32 v73, v4 offset:15104                           // 00000000E130: D86C3B00 49000004
	ds_read_b32 v74, v4 offset:10784                           // 00000000E138: D86C2A20 4A000004
	ds_read_b32 v75, v4 offset:15136                           // 00000000E140: D86C3B20 4B000004
	ds_read_b32 v76, v4 offset:10816                           // 00000000E148: D86C2A40 4C000004
	ds_read_b32 v77, v4 offset:15168                           // 00000000E150: D86C3B40 4D000004
	ds_read_b32 v78, v4 offset:10848                           // 00000000E158: D86C2A60 4E000004
	ds_read_b32 v79, v4 offset:15200                           // 00000000E160: D86C3B60 4F000004
	s_waitcnt lgkmcnt(0)                                       // 00000000E168: BF8CC07F
	s_setvskip s20, 0                                          // 00000000E16C: BF108014
	global_atomic_pk_add_bf16 v80, v64, s[8:9]                 // 00000000E170: DD488000 00084050
	s_setvskip 0, 0                                            // 00000000E178: BF108080
	s_setvskip s20, 0                                          // 00000000E17C: BF108014
	global_atomic_pk_add_bf16 v80, v65, s[8:9] offset:256      // 00000000E180: DD488100 00084150
	s_setvskip 0, 0                                            // 00000000E188: BF108080
	s_setvskip s20, 1                                          // 00000000E18C: BF108114
	global_atomic_pk_add_bf16 v82, v66, s[8:9]                 // 00000000E190: DD488000 00084252
	s_setvskip 0, 0                                            // 00000000E198: BF108080
	s_setvskip s20, 1                                          // 00000000E19C: BF108114
	global_atomic_pk_add_bf16 v82, v67, s[8:9] offset:256      // 00000000E1A0: DD488100 00084352
	s_setvskip 0, 0                                            // 00000000E1A8: BF108080
	s_setvskip s20, 2                                          // 00000000E1AC: BF108214
	global_atomic_pk_add_bf16 v84, v68, s[8:9]                 // 00000000E1B0: DD488000 00084454
	s_setvskip 0, 0                                            // 00000000E1B8: BF108080
	s_setvskip s20, 2                                          // 00000000E1BC: BF108214
	global_atomic_pk_add_bf16 v84, v69, s[8:9] offset:256      // 00000000E1C0: DD488100 00084554
	s_setvskip 0, 0                                            // 00000000E1C8: BF108080
	s_setvskip s20, 3                                          // 00000000E1CC: BF108314
	global_atomic_pk_add_bf16 v86, v70, s[8:9]                 // 00000000E1D0: DD488000 00084656
	s_setvskip 0, 0                                            // 00000000E1D8: BF108080
	s_setvskip s20, 3                                          // 00000000E1DC: BF108314
	global_atomic_pk_add_bf16 v86, v71, s[8:9] offset:256      // 00000000E1E0: DD488100 00084756
	s_setvskip 0, 0                                            // 00000000E1E8: BF108080
	s_setvskip s20, 4                                          // 00000000E1EC: BF108414
	global_atomic_pk_add_bf16 v88, v72, s[8:9]                 // 00000000E1F0: DD488000 00084858
	s_setvskip 0, 0                                            // 00000000E1F8: BF108080
	s_setvskip s20, 4                                          // 00000000E1FC: BF108414
	global_atomic_pk_add_bf16 v88, v73, s[8:9] offset:256      // 00000000E200: DD488100 00084958
	s_setvskip 0, 0                                            // 00000000E208: BF108080
	s_setvskip s20, 5                                          // 00000000E20C: BF108514
	global_atomic_pk_add_bf16 v90, v74, s[8:9]                 // 00000000E210: DD488000 00084A5A
	s_setvskip 0, 0                                            // 00000000E218: BF108080
	s_setvskip s20, 5                                          // 00000000E21C: BF108514
	global_atomic_pk_add_bf16 v90, v75, s[8:9] offset:256      // 00000000E220: DD488100 00084B5A
	s_setvskip 0, 0                                            // 00000000E228: BF108080
	s_setvskip s20, 6                                          // 00000000E22C: BF108614
	global_atomic_pk_add_bf16 v92, v76, s[8:9]                 // 00000000E230: DD488000 00084C5C
	s_setvskip 0, 0                                            // 00000000E238: BF108080
	s_setvskip s20, 6                                          // 00000000E23C: BF108614
	global_atomic_pk_add_bf16 v92, v77, s[8:9] offset:256      // 00000000E240: DD488100 00084D5C
	s_setvskip 0, 0                                            // 00000000E248: BF108080
	s_setvskip s20, 7                                          // 00000000E24C: BF108714
	global_atomic_pk_add_bf16 v94, v78, s[8:9]                 // 00000000E250: DD488000 00084E5E
	s_setvskip 0, 0                                            // 00000000E258: BF108080
	s_setvskip s20, 7                                          // 00000000E25C: BF108714
	global_atomic_pk_add_bf16 v94, v79, s[8:9] offset:256      // 00000000E260: DD488100 00084F5E
	s_setvskip 0, 0                                            // 00000000E268: BF108080
	s_branch label_2DF2                                        // 00000000E26C: BF8200D6

000000000000e270 <label_2D1C>:
	ds_read_b32 v64, v4 offset:2048                            // 00000000E270: D86C0800 40000004
	ds_read_b32 v65, v4 offset:6400                            // 00000000E278: D86C1900 41000004
	ds_read_b32 v66, v4 offset:2080                            // 00000000E280: D86C0820 42000004
	ds_read_b32 v67, v4 offset:6432                            // 00000000E288: D86C1920 43000004
	ds_read_b32 v68, v4 offset:2112                            // 00000000E290: D86C0840 44000004
	ds_read_b32 v69, v4 offset:6464                            // 00000000E298: D86C1940 45000004
	ds_read_b32 v70, v4 offset:2144                            // 00000000E2A0: D86C0860 46000004
	ds_read_b32 v71, v4 offset:6496                            // 00000000E2A8: D86C1960 47000004
	ds_read_b32 v72, v4 offset:10752                           // 00000000E2B0: D86C2A00 48000004
	ds_read_b32 v73, v4 offset:15104                           // 00000000E2B8: D86C3B00 49000004
	ds_read_b32 v74, v4 offset:10784                           // 00000000E2C0: D86C2A20 4A000004
	ds_read_b32 v75, v4 offset:15136                           // 00000000E2C8: D86C3B20 4B000004
	ds_read_b32 v76, v4 offset:10816                           // 00000000E2D0: D86C2A40 4C000004
	ds_read_b32 v77, v4 offset:15168                           // 00000000E2D8: D86C3B40 4D000004
	ds_read_b32 v78, v4 offset:10848                           // 00000000E2E0: D86C2A60 4E000004
	ds_read_b32 v79, v4 offset:15200                           // 00000000E2E8: D86C3B60 4F000004
	s_waitcnt lgkmcnt(0)                                       // 00000000E2F0: BF8CC07F
	s_setvskip s20, 0                                          // 00000000E2F4: BF108014
	global_atomic_pk_add_bf16 v80, v64, s[8:9]                 // 00000000E2F8: DD488000 00084050
	s_setvskip 0, 0                                            // 00000000E300: BF108080
	s_setvskip s20, 0                                          // 00000000E304: BF108014
	global_atomic_pk_add_bf16 v80, v65, s[8:9] offset:256      // 00000000E308: DD488100 00084150
	s_setvskip 0, 0                                            // 00000000E310: BF108080
	s_setvskip s20, 1                                          // 00000000E314: BF108114
	global_atomic_pk_add_bf16 v82, v66, s[8:9]                 // 00000000E318: DD488000 00084252
	s_setvskip 0, 0                                            // 00000000E320: BF108080
	s_setvskip s20, 1                                          // 00000000E324: BF108114
	global_atomic_pk_add_bf16 v82, v67, s[8:9] offset:256      // 00000000E328: DD488100 00084352
	s_setvskip 0, 0                                            // 00000000E330: BF108080
	s_setvskip s20, 2                                          // 00000000E334: BF108214
	global_atomic_pk_add_bf16 v84, v68, s[8:9]                 // 00000000E338: DD488000 00084454
	s_setvskip 0, 0                                            // 00000000E340: BF108080
	s_setvskip s20, 2                                          // 00000000E344: BF108214
	global_atomic_pk_add_bf16 v84, v69, s[8:9] offset:256      // 00000000E348: DD488100 00084554
	s_setvskip 0, 0                                            // 00000000E350: BF108080
	s_setvskip s20, 3                                          // 00000000E354: BF108314
	global_atomic_pk_add_bf16 v86, v70, s[8:9]                 // 00000000E358: DD488000 00084656
	s_setvskip 0, 0                                            // 00000000E360: BF108080
	s_setvskip s20, 3                                          // 00000000E364: BF108314
	global_atomic_pk_add_bf16 v86, v71, s[8:9] offset:256      // 00000000E368: DD488100 00084756
	s_setvskip 0, 0                                            // 00000000E370: BF108080
	s_setvskip s20, 4                                          // 00000000E374: BF108414
	global_atomic_pk_add_bf16 v88, v72, s[8:9]                 // 00000000E378: DD488000 00084858
	s_setvskip 0, 0                                            // 00000000E380: BF108080
	s_setvskip s20, 4                                          // 00000000E384: BF108414
	global_atomic_pk_add_bf16 v88, v73, s[8:9] offset:256      // 00000000E388: DD488100 00084958
	s_setvskip 0, 0                                            // 00000000E390: BF108080
	s_setvskip s20, 5                                          // 00000000E394: BF108514
	global_atomic_pk_add_bf16 v90, v74, s[8:9]                 // 00000000E398: DD488000 00084A5A
	s_setvskip 0, 0                                            // 00000000E3A0: BF108080
	s_setvskip s20, 5                                          // 00000000E3A4: BF108514
	global_atomic_pk_add_bf16 v90, v75, s[8:9] offset:256      // 00000000E3A8: DD488100 00084B5A
	s_setvskip 0, 0                                            // 00000000E3B0: BF108080
	s_setvskip s20, 6                                          // 00000000E3B4: BF108614
	global_atomic_pk_add_bf16 v92, v76, s[8:9]                 // 00000000E3B8: DD488000 00084C5C
	s_setvskip 0, 0                                            // 00000000E3C0: BF108080
	s_setvskip s20, 6                                          // 00000000E3C4: BF108614
	global_atomic_pk_add_bf16 v92, v77, s[8:9] offset:256      // 00000000E3C8: DD488100 00084D5C
	s_setvskip 0, 0                                            // 00000000E3D0: BF108080
	s_setvskip s20, 7                                          // 00000000E3D4: BF108714
	global_atomic_pk_add_bf16 v94, v78, s[8:9]                 // 00000000E3D8: DD488000 00084E5E
	s_setvskip 0, 0                                            // 00000000E3E0: BF108080
	s_setvskip s20, 7                                          // 00000000E3E4: BF108714
	global_atomic_pk_add_bf16 v94, v79, s[8:9] offset:256      // 00000000E3E8: DD488100 00084F5E
	s_setvskip 0, 0                                            // 00000000E3F0: BF108080
	s_add_u32 s8, s59, s8                                      // 00000000E3F4: 8008083B
	s_addc_u32 s9, 0, s9                                       // 00000000E3F8: 82090980
	ds_write_b64 v3, v[208:209] offset:19456                   // 00000000E3FC: D89A4C00 0000D003
	ds_write_b64 v3, v[210:211] offset:28160                   // 00000000E404: D89A6E00 0000D203
	ds_write_b64 v3, v[212:213] offset:21632                   // 00000000E40C: D89A5480 0000D403
	ds_write_b64 v3, v[214:215] offset:30336                   // 00000000E414: D89A7680 0000D603
	ds_write_b64 v3, v[216:217] offset:23808                   // 00000000E41C: D89A5D00 0000D803
	ds_write_b64 v3, v[218:219] offset:32512                   // 00000000E424: D89A7F00 0000DA03
	ds_write_b64 v3, v[220:221] offset:25984                   // 00000000E42C: D89A6580 0000DC03
	ds_write_b64 v3, v[222:223] offset:34688                   // 00000000E434: D89A8780 0000DE03
	s_waitcnt lgkmcnt(0)                                       // 00000000E43C: BF8CC07F
	s_barrier                                                  // 00000000E440: BF8A0000
	ds_read_b32 v64, v4 offset:19456                           // 00000000E444: D86C4C00 40000004
	ds_read_b32 v65, v4 offset:23808                           // 00000000E44C: D86C5D00 41000004
	ds_read_b32 v66, v4 offset:19488                           // 00000000E454: D86C4C20 42000004
	ds_read_b32 v67, v4 offset:23840                           // 00000000E45C: D86C5D20 43000004
	ds_read_b32 v68, v4 offset:19520                           // 00000000E464: D86C4C40 44000004
	ds_read_b32 v69, v4 offset:23872                           // 00000000E46C: D86C5D40 45000004
	ds_read_b32 v70, v4 offset:19552                           // 00000000E474: D86C4C60 46000004
	ds_read_b32 v71, v4 offset:23904                           // 00000000E47C: D86C5D60 47000004
	ds_read_b32 v72, v4 offset:28160                           // 00000000E484: D86C6E00 48000004
	ds_read_b32 v73, v4 offset:32512                           // 00000000E48C: D86C7F00 49000004
	ds_read_b32 v74, v4 offset:28192                           // 00000000E494: D86C6E20 4A000004
	ds_read_b32 v75, v4 offset:32544                           // 00000000E49C: D86C7F20 4B000004
	ds_read_b32 v76, v4 offset:28224                           // 00000000E4A4: D86C6E40 4C000004
	ds_read_b32 v77, v4 offset:32576                           // 00000000E4AC: D86C7F40 4D000004
	ds_read_b32 v78, v4 offset:28256                           // 00000000E4B4: D86C6E60 4E000004
	ds_read_b32 v79, v4 offset:32608                           // 00000000E4BC: D86C7F60 4F000004
	s_waitcnt lgkmcnt(0)                                       // 00000000E4C4: BF8CC07F
	s_setvskip s20, 0                                          // 00000000E4C8: BF108014
	global_atomic_pk_add_bf16 v80, v64, s[8:9]                 // 00000000E4CC: DD488000 00084050
	s_setvskip 0, 0                                            // 00000000E4D4: BF108080
	s_setvskip s20, 0                                          // 00000000E4D8: BF108014
	global_atomic_pk_add_bf16 v80, v65, s[8:9] offset:256      // 00000000E4DC: DD488100 00084150
	s_setvskip 0, 0                                            // 00000000E4E4: BF108080
	s_setvskip s20, 1                                          // 00000000E4E8: BF108114
	global_atomic_pk_add_bf16 v82, v66, s[8:9]                 // 00000000E4EC: DD488000 00084252
	s_setvskip 0, 0                                            // 00000000E4F4: BF108080
	s_setvskip s20, 1                                          // 00000000E4F8: BF108114
	global_atomic_pk_add_bf16 v82, v67, s[8:9] offset:256      // 00000000E4FC: DD488100 00084352
	s_setvskip 0, 0                                            // 00000000E504: BF108080
	s_setvskip s20, 2                                          // 00000000E508: BF108214
	global_atomic_pk_add_bf16 v84, v68, s[8:9]                 // 00000000E50C: DD488000 00084454
	s_setvskip 0, 0                                            // 00000000E514: BF108080
	s_setvskip s20, 2                                          // 00000000E518: BF108214
	global_atomic_pk_add_bf16 v84, v69, s[8:9] offset:256      // 00000000E51C: DD488100 00084554
	s_setvskip 0, 0                                            // 00000000E524: BF108080
	s_setvskip s20, 3                                          // 00000000E528: BF108314
	global_atomic_pk_add_bf16 v86, v70, s[8:9]                 // 00000000E52C: DD488000 00084656
	s_setvskip 0, 0                                            // 00000000E534: BF108080
	s_setvskip s20, 3                                          // 00000000E538: BF108314
	global_atomic_pk_add_bf16 v86, v71, s[8:9] offset:256      // 00000000E53C: DD488100 00084756
	s_setvskip 0, 0                                            // 00000000E544: BF108080
	s_setvskip s20, 4                                          // 00000000E548: BF108414
	global_atomic_pk_add_bf16 v88, v72, s[8:9]                 // 00000000E54C: DD488000 00084858
	s_setvskip 0, 0                                            // 00000000E554: BF108080
	s_setvskip s20, 4                                          // 00000000E558: BF108414
	global_atomic_pk_add_bf16 v88, v73, s[8:9] offset:256      // 00000000E55C: DD488100 00084958
	s_setvskip 0, 0                                            // 00000000E564: BF108080
	s_setvskip s20, 5                                          // 00000000E568: BF108514
	global_atomic_pk_add_bf16 v90, v74, s[8:9]                 // 00000000E56C: DD488000 00084A5A
	s_setvskip 0, 0                                            // 00000000E574: BF108080
	s_setvskip s20, 5                                          // 00000000E578: BF108514
	global_atomic_pk_add_bf16 v90, v75, s[8:9] offset:256      // 00000000E57C: DD488100 00084B5A
	s_setvskip 0, 0                                            // 00000000E584: BF108080
	s_setvskip s20, 6                                          // 00000000E588: BF108614
	global_atomic_pk_add_bf16 v92, v76, s[8:9]                 // 00000000E58C: DD488000 00084C5C
	s_setvskip 0, 0                                            // 00000000E594: BF108080
	s_setvskip s20, 6                                          // 00000000E598: BF108614
	global_atomic_pk_add_bf16 v92, v77, s[8:9] offset:256      // 00000000E59C: DD488100 00084D5C
	s_setvskip 0, 0                                            // 00000000E5A4: BF108080
	s_setvskip s20, 7                                          // 00000000E5A8: BF108714
	global_atomic_pk_add_bf16 v94, v78, s[8:9]                 // 00000000E5AC: DD488000 00084E5E
	s_setvskip 0, 0                                            // 00000000E5B4: BF108080
	s_setvskip s20, 7                                          // 00000000E5B8: BF108714
	global_atomic_pk_add_bf16 v94, v79, s[8:9] offset:256      // 00000000E5BC: DD488100 00084F5E
	s_setvskip 0, 0                                            // 00000000E5C4: BF108080

000000000000e5c8 <label_2DF2>:
	s_waitcnt vmcnt(0) expcnt(0) lgkmcnt(0)                    // 00000000E5C8: BF8C0000
	s_endpgm                                                   // 00000000E5CC: BF810000
